;; amdgpu-corpus repo=ggml-org/llama.cpp kind=compiled arch=gfx1250 opt=O3
	.amdgcn_target "amdgcn-amd-amdhsa--gfx1250"
	.amdhsa_code_object_version 6
	.section	.text._ZL9cpy_f32_qIXadL_ZL17cpy_blck_f32_q8_0PKcPcEELi32EEvS1_S2_lllllllllllllll,"axG",@progbits,_ZL9cpy_f32_qIXadL_ZL17cpy_blck_f32_q8_0PKcPcEELi32EEvS1_S2_lllllllllllllll,comdat
	.globl	_ZL9cpy_f32_qIXadL_ZL17cpy_blck_f32_q8_0PKcPcEELi32EEvS1_S2_lllllllllllllll ; -- Begin function _ZL9cpy_f32_qIXadL_ZL17cpy_blck_f32_q8_0PKcPcEELi32EEvS1_S2_lllllllllllllll
	.p2align	8
	.type	_ZL9cpy_f32_qIXadL_ZL17cpy_blck_f32_q8_0PKcPcEELi32EEvS1_S2_lllllllllllllll,@function
_ZL9cpy_f32_qIXadL_ZL17cpy_blck_f32_q8_0PKcPcEELi32EEvS1_S2_lllllllllllllll: ; @_ZL9cpy_f32_qIXadL_ZL17cpy_blck_f32_q8_0PKcPcEELi32EEvS1_S2_lllllllllllllll
; %bb.0:
	s_load_b32 s2, s[0:1], 0x94
	s_bfe_u32 s3, ttmp6, 0x4000c
	v_mov_b32_e32 v2, 0
	s_add_co_i32 s3, s3, 1
	s_and_b32 s4, ttmp6, 15
	s_mul_i32 s3, ttmp9, s3
	s_getreg_b32 s5, hwreg(HW_REG_IB_STS2, 6, 4)
	v_mov_b32_e32 v1, v2
	s_add_co_i32 s3, s4, s3
	s_wait_kmcnt 0x0
	s_and_b32 s2, s2, 0xffff
	s_cmp_eq_u32 s5, 0
	s_load_b512 s[4:19], s[0:1], 0x0
	s_cselect_b32 s3, ttmp9, s3
	s_delay_alu instid0(SALU_CYCLE_1) | instskip(SKIP_1) | instid1(VALU_DEP_1)
	v_mad_nc_u64_u32 v[0:1], s2, s3, v[0:1]
	s_mov_b32 s2, exec_lo
	v_lshlrev_b64_e32 v[4:5], 5, v[0:1]
	s_wait_kmcnt 0x0
	s_delay_alu instid0(VALU_DEP_1)
	v_cmpx_gt_i64_e64 s[8:9], v[4:5]
	s_cbranch_execz .LBB0_26
; %bb.1:
	s_mul_u64 s[8:9], s[12:13], s[10:11]
                                        ; implicit-def: $vgpr0_vgpr1
	s_mov_b32 s2, exec_lo
	s_mul_u64 s[12:13], s[8:9], s[14:15]
	s_delay_alu instid0(SALU_CYCLE_1) | instskip(NEXT) | instid1(VALU_DEP_1)
	v_dual_ashrrev_i32 v8, 31, v5 :: v_dual_bitop2_b32 v3, s13, v5 bitop3:0x54
	v_cmpx_ne_u64_e32 0, v[2:3]
	s_xor_b32 s3, exec_lo, s2
	s_cbranch_execz .LBB0_3
; %bb.2:
	s_ashr_i32 s14, s13, 31
	s_mov_b32 s29, 0
	s_mov_b32 s15, s14
	v_dual_mov_b32 v9, v8 :: v_dual_mov_b32 v3, 0
	s_add_nc_u64 s[20:21], s[12:13], s[14:15]
	s_delay_alu instid0(SALU_CYCLE_1) | instskip(NEXT) | instid1(VALU_DEP_1)
	s_xor_b64 s[20:21], s[20:21], s[14:15]
	v_add_nc_u64_e32 v[0:1], v[4:5], v[8:9]
	s_cvt_f32_u32 s2, s20
	s_cvt_f32_u32 s15, s21
	s_sub_nc_u64 s[24:25], 0, s[20:21]
	v_dual_mov_b32 v7, v3 :: v_dual_mov_b32 v15, v3
	s_delay_alu instid0(SALU_CYCLE_1) | instskip(NEXT) | instid1(VALU_DEP_2)
	s_fmamk_f32 s2, s15, 0x4f800000, s2
	v_xor_b32_e32 v2, v0, v8
	v_xor_b32_e32 v6, v1, v8
	s_delay_alu instid0(SALU_CYCLE_1) | instskip(NEXT) | instid1(TRANS32_DEP_1)
	v_s_rcp_f32 s2, s2
	s_mul_f32 s2, s2, 0x5f7ffffc
	s_delay_alu instid0(SALU_CYCLE_3) | instskip(NEXT) | instid1(SALU_CYCLE_3)
	s_mul_f32 s15, s2, 0x2f800000
	s_trunc_f32 s15, s15
	s_delay_alu instid0(SALU_CYCLE_3) | instskip(SKIP_1) | instid1(SALU_CYCLE_2)
	s_fmamk_f32 s2, s15, 0xcf800000, s2
	s_cvt_u32_f32 s23, s15
	s_cvt_u32_f32 s22, s2
	s_delay_alu instid0(SALU_CYCLE_3) | instskip(NEXT) | instid1(SALU_CYCLE_1)
	s_mul_u64 s[26:27], s[24:25], s[22:23]
	s_mul_hi_u32 s31, s22, s27
	s_mul_i32 s30, s22, s27
	s_mul_hi_u32 s28, s22, s26
	s_mul_i32 s15, s23, s26
	s_add_nc_u64 s[30:31], s[28:29], s[30:31]
	s_mul_hi_u32 s2, s23, s26
	s_mul_hi_u32 s33, s23, s27
	s_add_co_u32 s15, s30, s15
	s_add_co_ci_u32 s28, s31, s2
	s_mul_i32 s26, s23, s27
	s_add_co_ci_u32 s27, s33, 0
	s_delay_alu instid0(SALU_CYCLE_1) | instskip(NEXT) | instid1(SALU_CYCLE_1)
	s_add_nc_u64 s[26:27], s[28:29], s[26:27]
	s_add_co_u32 s22, s22, s26
	s_cselect_b32 s2, -1, 0
	s_delay_alu instid0(SALU_CYCLE_1) | instskip(SKIP_1) | instid1(SALU_CYCLE_1)
	s_cmp_lg_u32 s2, 0
	s_add_co_ci_u32 s23, s23, s27
	s_mul_u64 s[24:25], s[24:25], s[22:23]
	s_delay_alu instid0(SALU_CYCLE_1)
	s_mul_hi_u32 s27, s22, s25
	s_mul_i32 s26, s22, s25
	s_mul_hi_u32 s28, s22, s24
	s_mul_i32 s15, s23, s24
	s_add_nc_u64 s[26:27], s[28:29], s[26:27]
	s_mul_hi_u32 s2, s23, s24
	s_mul_hi_u32 s30, s23, s25
	s_add_co_u32 s15, s26, s15
	s_add_co_ci_u32 s28, s27, s2
	s_mul_i32 s24, s23, s25
	s_add_co_ci_u32 s25, s30, 0
	s_delay_alu instid0(SALU_CYCLE_1) | instskip(NEXT) | instid1(SALU_CYCLE_1)
	s_add_nc_u64 s[24:25], s[28:29], s[24:25]
	s_add_co_u32 s2, s22, s24
	s_cselect_b32 s15, -1, 0
	v_nop
	v_mul_hi_u32 v14, v2, s2
	s_cmp_lg_u32 s15, 0
	s_add_co_ci_u32 s28, s23, s25
	s_mov_b64 s[22:23], 0xffffffff
	v_mul_u64_e32 v[10:11], s[28:29], v[2:3]
	s_and_b64 s[22:23], s[2:3], s[22:23]
	v_mul_u64_e32 v[12:13], s[28:29], v[6:7]
	v_mul_u64_e32 v[0:1], s[22:23], v[6:7]
	s_delay_alu instid0(VALU_DEP_3) | instskip(NEXT) | instid1(VALU_DEP_1)
	v_add_nc_u64_e32 v[10:11], v[14:15], v[10:11]
	v_add_co_u32 v0, vcc_lo, v10, v0
	s_delay_alu instid0(VALU_DEP_2) | instskip(SKIP_1) | instid1(VALU_DEP_1)
	v_add_co_ci_u32_e32 v14, vcc_lo, v11, v1, vcc_lo
	v_add_co_ci_u32_e32 v13, vcc_lo, 0, v13, vcc_lo
	v_add_nc_u64_e32 v[0:1], v[14:15], v[12:13]
	s_delay_alu instid0(VALU_DEP_1) | instskip(NEXT) | instid1(VALU_DEP_1)
	v_mul_u64_e32 v[10:11], s[20:21], v[0:1]
	v_sub_nc_u32_e32 v3, v6, v11
	s_delay_alu instid0(VALU_DEP_2) | instskip(NEXT) | instid1(VALU_DEP_1)
	v_sub_co_u32 v2, vcc_lo, v2, v10
	v_sub_co_ci_u32_e64 v9, null, v6, v11, vcc_lo
	s_delay_alu instid0(VALU_DEP_3) | instskip(NEXT) | instid1(VALU_DEP_3)
	v_subrev_co_ci_u32_e64 v3, null, s21, v3, vcc_lo
	v_sub_co_u32 v7, s2, v2, s20
	s_delay_alu instid0(VALU_DEP_1) | instskip(NEXT) | instid1(VALU_DEP_2)
	v_subrev_co_ci_u32_e64 v3, null, 0, v3, s2
	v_cmp_le_u32_e32 vcc_lo, s20, v7
	v_cndmask_b32_e64 v6, 0, -1, vcc_lo
	s_delay_alu instid0(VALU_DEP_3)
	v_cmp_le_u32_e32 vcc_lo, s21, v3
	v_cndmask_b32_e64 v7, 0, -1, vcc_lo
	v_cmp_le_u32_e32 vcc_lo, s20, v2
	v_cndmask_b32_e64 v10, 0, -1, vcc_lo
	v_cmp_le_u32_e32 vcc_lo, s21, v9
	v_cndmask_b32_e64 v11, 0, -1, vcc_lo
	v_cmp_eq_u32_e32 vcc_lo, s21, v3
	v_add_nc_u64_e32 v[2:3], 2, v[0:1]
	v_cndmask_b32_e32 v12, v7, v6, vcc_lo
	v_cmp_eq_u32_e32 vcc_lo, s21, v9
	v_add_nc_u64_e32 v[6:7], 1, v[0:1]
	v_cndmask_b32_e32 v9, v11, v10, vcc_lo
	s_delay_alu instid0(VALU_DEP_4) | instskip(NEXT) | instid1(VALU_DEP_3)
	v_cmp_ne_u32_e32 vcc_lo, 0, v12
	v_dual_cndmask_b32 v3, v7, v3 :: v_dual_cndmask_b32 v6, v6, v2
	v_xor_b32_e32 v2, s14, v8
	s_delay_alu instid0(VALU_DEP_4) | instskip(NEXT) | instid1(VALU_DEP_1)
	v_cmp_ne_u32_e64 s2, 0, v9
	v_dual_cndmask_b32 v1, v1, v3, s2 :: v_dual_cndmask_b32 v0, v0, v6, s2
	s_delay_alu instid0(VALU_DEP_1) | instskip(NEXT) | instid1(VALU_DEP_2)
	v_dual_mov_b32 v3, v2 :: v_dual_bitop2_b32 v1, v1, v2 bitop3:0x14
	v_xor_b32_e32 v0, v0, v2
	s_delay_alu instid0(VALU_DEP_1)
	v_sub_nc_u64_e32 v[0:1], v[0:1], v[2:3]
.LBB0_3:
	s_and_not1_saveexec_b32 s2, s3
	s_cbranch_execz .LBB0_5
; %bb.4:
	v_cvt_f32_u32_e32 v0, s12
	s_sub_co_i32 s3, 0, s12
	s_delay_alu instid0(VALU_DEP_1) | instskip(SKIP_1) | instid1(TRANS32_DEP_1)
	v_rcp_iflag_f32_e32 v0, v0
	v_nop
	v_mul_f32_e32 v0, 0x4f7ffffe, v0
	s_delay_alu instid0(VALU_DEP_1) | instskip(NEXT) | instid1(VALU_DEP_1)
	v_cvt_u32_f32_e32 v0, v0
	v_mul_lo_u32 v1, s3, v0
	s_delay_alu instid0(VALU_DEP_1) | instskip(NEXT) | instid1(VALU_DEP_1)
	v_mul_hi_u32 v1, v0, v1
	v_add_nc_u32_e32 v0, v0, v1
	s_delay_alu instid0(VALU_DEP_1) | instskip(NEXT) | instid1(VALU_DEP_1)
	v_mul_hi_u32 v0, v4, v0
	v_mul_lo_u32 v1, v0, s12
	s_delay_alu instid0(VALU_DEP_1) | instskip(NEXT) | instid1(VALU_DEP_1)
	v_dual_add_nc_u32 v2, 1, v0 :: v_dual_sub_nc_u32 v1, v4, v1
	v_subrev_nc_u32_e32 v3, s12, v1
	v_cmp_le_u32_e32 vcc_lo, s12, v1
	s_delay_alu instid0(VALU_DEP_2) | instskip(NEXT) | instid1(VALU_DEP_1)
	v_dual_cndmask_b32 v1, v1, v3 :: v_dual_cndmask_b32 v0, v0, v2
	v_cmp_le_u32_e32 vcc_lo, s12, v1
	s_delay_alu instid0(VALU_DEP_2) | instskip(NEXT) | instid1(VALU_DEP_1)
	v_dual_mov_b32 v1, 0 :: v_dual_add_nc_u32 v2, 1, v0
	v_cndmask_b32_e32 v0, v0, v2, vcc_lo
.LBB0_5:
	s_or_b32 exec_lo, exec_lo, s2
	s_delay_alu instid0(VALU_DEP_1) | instskip(SKIP_2) | instid1(VALU_DEP_2)
	v_mul_u64_e32 v[2:3], s[12:13], v[0:1]
	s_mov_b32 s2, exec_lo
	v_mov_b32_e32 v10, 0
	v_sub_nc_u64_e32 v[6:7], v[4:5], v[2:3]
                                        ; implicit-def: $vgpr2_vgpr3
	s_delay_alu instid0(VALU_DEP_1) | instskip(NEXT) | instid1(VALU_DEP_1)
	v_or_b32_e32 v11, s9, v7
	v_cmpx_ne_u64_e32 0, v[10:11]
	s_xor_b32 s3, exec_lo, s2
	s_cbranch_execz .LBB0_7
; %bb.6:
	s_ashr_i32 s12, s9, 31
	s_mov_b32 s27, 0
	s_mov_b32 s13, s12
	v_dual_mov_b32 v15, v10 :: v_dual_ashrrev_i32 v2, 31, v7
	s_add_nc_u64 s[14:15], s[8:9], s[12:13]
	v_dual_mov_b32 v23, v10 :: v_dual_mov_b32 v11, v10
	s_xor_b64 s[14:15], s[14:15], s[12:13]
	s_delay_alu instid0(VALU_DEP_2) | instskip(SKIP_3) | instid1(VALU_DEP_1)
	v_mov_b32_e32 v3, v2
	s_cvt_f32_u32 s2, s14
	s_cvt_f32_u32 s13, s15
	s_sub_nc_u64 s[22:23], 0, s[14:15]
	v_add_nc_u64_e32 v[12:13], v[6:7], v[2:3]
	s_delay_alu instid0(SALU_CYCLE_1) | instskip(SKIP_1) | instid1(SALU_CYCLE_2)
	s_fmamk_f32 s2, s13, 0x4f800000, s2
	v_mov_b32_e32 v17, v10
	v_s_rcp_f32 s2, s2
	s_delay_alu instid0(VALU_DEP_2) | instskip(NEXT) | instid1(VALU_DEP_3)
	v_xor_b32_e32 v14, v12, v2
	v_xor_b32_e32 v16, v13, v2
	;; [unrolled: 1-line block ×3, first 2 shown]
	s_delay_alu instid0(TRANS32_DEP_1) | instskip(NEXT) | instid1(SALU_CYCLE_3)
	s_mul_f32 s2, s2, 0x5f7ffffc
	s_mul_f32 s13, s2, 0x2f800000
	s_delay_alu instid0(SALU_CYCLE_3) | instskip(NEXT) | instid1(SALU_CYCLE_3)
	s_trunc_f32 s13, s13
	s_fmamk_f32 s2, s13, 0xcf800000, s2
	s_cvt_u32_f32 s21, s13
	s_delay_alu instid0(SALU_CYCLE_2) | instskip(NEXT) | instid1(SALU_CYCLE_3)
	s_cvt_u32_f32 s20, s2
	s_mul_u64 s[24:25], s[22:23], s[20:21]
	s_delay_alu instid0(SALU_CYCLE_1)
	s_mul_hi_u32 s29, s20, s25
	s_mul_i32 s28, s20, s25
	s_mul_hi_u32 s26, s20, s24
	s_mul_i32 s13, s21, s24
	s_add_nc_u64 s[28:29], s[26:27], s[28:29]
	s_mul_hi_u32 s2, s21, s24
	s_mul_hi_u32 s30, s21, s25
	s_add_co_u32 s13, s28, s13
	s_add_co_ci_u32 s26, s29, s2
	s_mul_i32 s24, s21, s25
	s_add_co_ci_u32 s25, s30, 0
	s_delay_alu instid0(SALU_CYCLE_1) | instskip(NEXT) | instid1(SALU_CYCLE_1)
	s_add_nc_u64 s[24:25], s[26:27], s[24:25]
	s_add_co_u32 s20, s20, s24
	s_cselect_b32 s2, -1, 0
	s_delay_alu instid0(SALU_CYCLE_1) | instskip(SKIP_1) | instid1(SALU_CYCLE_1)
	s_cmp_lg_u32 s2, 0
	s_add_co_ci_u32 s21, s21, s25
	s_mul_u64 s[22:23], s[22:23], s[20:21]
	s_delay_alu instid0(SALU_CYCLE_1)
	s_mul_hi_u32 s25, s20, s23
	s_mul_i32 s24, s20, s23
	s_mul_hi_u32 s26, s20, s22
	s_mul_i32 s13, s21, s22
	s_add_nc_u64 s[24:25], s[26:27], s[24:25]
	s_mul_hi_u32 s2, s21, s22
	s_mul_hi_u32 s28, s21, s23
	s_add_co_u32 s13, s24, s13
	s_add_co_ci_u32 s26, s25, s2
	s_mul_i32 s22, s21, s23
	s_add_co_ci_u32 s23, s28, 0
	s_delay_alu instid0(SALU_CYCLE_1) | instskip(NEXT) | instid1(SALU_CYCLE_1)
	s_add_nc_u64 s[22:23], s[26:27], s[22:23]
	s_add_co_u32 s2, s20, s22
	s_cselect_b32 s13, -1, 0
	v_mul_hi_u32 v22, v14, s2
	s_cmp_lg_u32 s13, 0
	s_add_co_ci_u32 s26, s21, s23
	s_mov_b64 s[20:21], 0xffffffff
	v_mul_u64_e32 v[18:19], s[26:27], v[14:15]
	s_and_b64 s[20:21], s[2:3], s[20:21]
	v_mul_u64_e32 v[20:21], s[26:27], v[16:17]
	v_mul_u64_e32 v[12:13], s[20:21], v[16:17]
	s_delay_alu instid0(VALU_DEP_3) | instskip(NEXT) | instid1(VALU_DEP_1)
	v_add_nc_u64_e32 v[18:19], v[22:23], v[18:19]
	v_add_co_u32 v3, vcc_lo, v18, v12
	s_delay_alu instid0(VALU_DEP_2) | instskip(SKIP_1) | instid1(VALU_DEP_1)
	v_add_co_ci_u32_e32 v10, vcc_lo, v19, v13, vcc_lo
	v_add_co_ci_u32_e32 v21, vcc_lo, 0, v21, vcc_lo
	v_add_nc_u64_e32 v[10:11], v[10:11], v[20:21]
	s_delay_alu instid0(VALU_DEP_1) | instskip(NEXT) | instid1(VALU_DEP_1)
	v_mul_u64_e32 v[12:13], s[14:15], v[10:11]
	v_sub_co_u32 v9, vcc_lo, v14, v12
	v_add_nc_u64_e32 v[14:15], 1, v[10:11]
	s_delay_alu instid0(VALU_DEP_3) | instskip(SKIP_1) | instid1(VALU_DEP_4)
	v_sub_nc_u32_e32 v3, v16, v13
	v_sub_co_ci_u32_e64 v16, null, v16, v13, vcc_lo
	v_sub_co_u32 v12, s2, v9, s14
	s_delay_alu instid0(VALU_DEP_3) | instskip(NEXT) | instid1(VALU_DEP_2)
	v_subrev_co_ci_u32_e64 v3, null, s15, v3, vcc_lo
	v_cmp_le_u32_e32 vcc_lo, s14, v12
	s_delay_alu instid0(VALU_DEP_2) | instskip(SKIP_1) | instid1(VALU_DEP_2)
	v_subrev_co_ci_u32_e64 v3, null, 0, v3, s2
	v_cndmask_b32_e64 v12, 0, -1, vcc_lo
	v_cmp_le_u32_e32 vcc_lo, s15, v3
	v_cndmask_b32_e64 v13, 0, -1, vcc_lo
	v_cmp_le_u32_e32 vcc_lo, s14, v9
	;; [unrolled: 2-line block ×3, first 2 shown]
	v_cndmask_b32_e64 v17, 0, -1, vcc_lo
	v_cmp_eq_u32_e32 vcc_lo, s15, v3
	v_cndmask_b32_e32 v3, v13, v12, vcc_lo
	v_cmp_eq_u32_e32 vcc_lo, s15, v16
	v_add_nc_u64_e32 v[12:13], 2, v[10:11]
	v_cndmask_b32_e32 v9, v17, v9, vcc_lo
	s_delay_alu instid0(VALU_DEP_4) | instskip(NEXT) | instid1(VALU_DEP_2)
	v_cmp_ne_u32_e32 vcc_lo, 0, v3
	v_cmp_ne_u32_e64 s2, 0, v9
	s_delay_alu instid0(VALU_DEP_4) | instskip(NEXT) | instid1(VALU_DEP_1)
	v_cndmask_b32_e32 v9, v14, v12, vcc_lo
	v_cndmask_b32_e64 v9, v10, v9, s2
	s_delay_alu instid0(VALU_DEP_1) | instskip(NEXT) | instid1(VALU_DEP_1)
	v_dual_cndmask_b32 v3, v15, v13, vcc_lo :: v_dual_bitop2_b32 v10, v9, v2 bitop3:0x14
	v_dual_cndmask_b32 v11, v11, v3, s2 :: v_dual_mov_b32 v3, v2
	s_delay_alu instid0(VALU_DEP_1) | instskip(NEXT) | instid1(VALU_DEP_1)
	v_xor_b32_e32 v11, v11, v2
	v_sub_nc_u64_e32 v[2:3], v[10:11], v[2:3]
.LBB0_7:
	s_and_not1_saveexec_b32 s2, s3
	s_cbranch_execz .LBB0_9
; %bb.8:
	v_cvt_f32_u32_e32 v2, s8
	s_sub_co_i32 s3, 0, s8
	s_delay_alu instid0(VALU_DEP_1) | instskip(SKIP_1) | instid1(TRANS32_DEP_1)
	v_rcp_iflag_f32_e32 v2, v2
	v_nop
	v_mul_f32_e32 v2, 0x4f7ffffe, v2
	s_delay_alu instid0(VALU_DEP_1) | instskip(NEXT) | instid1(VALU_DEP_1)
	v_cvt_u32_f32_e32 v2, v2
	v_mul_lo_u32 v3, s3, v2
	s_delay_alu instid0(VALU_DEP_1) | instskip(NEXT) | instid1(VALU_DEP_1)
	v_mul_hi_u32 v3, v2, v3
	v_add_nc_u32_e32 v2, v2, v3
	s_delay_alu instid0(VALU_DEP_1) | instskip(NEXT) | instid1(VALU_DEP_1)
	v_mul_hi_u32 v2, v6, v2
	v_mul_lo_u32 v3, v2, s8
	s_delay_alu instid0(VALU_DEP_1) | instskip(NEXT) | instid1(VALU_DEP_1)
	v_dual_add_nc_u32 v9, 1, v2 :: v_dual_sub_nc_u32 v3, v6, v3
	v_subrev_nc_u32_e32 v10, s8, v3
	v_cmp_le_u32_e32 vcc_lo, s8, v3
	s_delay_alu instid0(VALU_DEP_2) | instskip(NEXT) | instid1(VALU_DEP_1)
	v_dual_cndmask_b32 v3, v3, v10 :: v_dual_cndmask_b32 v2, v2, v9
	v_cmp_le_u32_e32 vcc_lo, s8, v3
	s_delay_alu instid0(VALU_DEP_2) | instskip(NEXT) | instid1(VALU_DEP_1)
	v_dual_add_nc_u32 v9, 1, v2 :: v_dual_mov_b32 v3, 0
	v_cndmask_b32_e32 v2, v2, v9, vcc_lo
.LBB0_9:
	s_or_b32 exec_lo, exec_lo, s2
	s_delay_alu instid0(VALU_DEP_1) | instskip(SKIP_2) | instid1(VALU_DEP_2)
	v_mul_u64_e32 v[10:11], s[8:9], v[2:3]
	s_mov_b32 s2, exec_lo
	v_mov_b32_e32 v12, 0
	v_sub_nc_u64_e32 v[6:7], v[6:7], v[10:11]
                                        ; implicit-def: $vgpr10_vgpr11
	s_delay_alu instid0(VALU_DEP_1) | instskip(NEXT) | instid1(VALU_DEP_1)
	v_or_b32_e32 v13, s11, v7
	v_cmpx_ne_u64_e32 0, v[12:13]
	s_xor_b32 s3, exec_lo, s2
	s_cbranch_execz .LBB0_11
; %bb.10:
	s_ashr_i32 s8, s11, 31
	s_mov_b32 s25, 0
	s_mov_b32 s9, s8
	v_dual_mov_b32 v17, v12 :: v_dual_ashrrev_i32 v10, 31, v7
	s_add_nc_u64 s[12:13], s[10:11], s[8:9]
	v_mov_b32_e32 v19, v12
	s_xor_b64 s[12:13], s[12:13], s[8:9]
	s_delay_alu instid0(VALU_DEP_2)
	v_mov_b32_e32 v11, v10
	s_cvt_f32_u32 s2, s12
	s_cvt_f32_u32 s9, s13
	s_sub_nc_u64 s[20:21], 0, s[12:13]
	v_mov_b32_e32 v25, v12
	v_add_nc_u64_e32 v[14:15], v[6:7], v[10:11]
	s_fmamk_f32 s2, s9, 0x4f800000, s2
	v_mov_b32_e32 v13, v12
	s_delay_alu instid0(SALU_CYCLE_2) | instskip(NEXT) | instid1(VALU_DEP_2)
	v_s_rcp_f32 s2, s2
	v_xor_b32_e32 v16, v14, v10
	s_delay_alu instid0(VALU_DEP_3) | instskip(SKIP_1) | instid1(TRANS32_DEP_1)
	v_xor_b32_e32 v18, v15, v10
	v_xor_b32_e32 v10, s8, v10
	s_mul_f32 s2, s2, 0x5f7ffffc
	s_delay_alu instid0(SALU_CYCLE_3) | instskip(NEXT) | instid1(SALU_CYCLE_3)
	s_mul_f32 s9, s2, 0x2f800000
	s_trunc_f32 s9, s9
	s_delay_alu instid0(SALU_CYCLE_3) | instskip(SKIP_1) | instid1(SALU_CYCLE_2)
	s_fmamk_f32 s2, s9, 0xcf800000, s2
	s_cvt_u32_f32 s15, s9
	s_cvt_u32_f32 s14, s2
	s_delay_alu instid0(SALU_CYCLE_3) | instskip(NEXT) | instid1(SALU_CYCLE_1)
	s_mul_u64 s[22:23], s[20:21], s[14:15]
	s_mul_hi_u32 s27, s14, s23
	s_mul_i32 s26, s14, s23
	s_mul_hi_u32 s24, s14, s22
	s_mul_i32 s9, s15, s22
	s_add_nc_u64 s[26:27], s[24:25], s[26:27]
	s_mul_hi_u32 s2, s15, s22
	s_mul_hi_u32 s28, s15, s23
	s_add_co_u32 s9, s26, s9
	s_add_co_ci_u32 s24, s27, s2
	s_mul_i32 s22, s15, s23
	s_add_co_ci_u32 s23, s28, 0
	s_delay_alu instid0(SALU_CYCLE_1) | instskip(NEXT) | instid1(SALU_CYCLE_1)
	s_add_nc_u64 s[22:23], s[24:25], s[22:23]
	s_add_co_u32 s14, s14, s22
	s_cselect_b32 s2, -1, 0
	s_delay_alu instid0(SALU_CYCLE_1) | instskip(SKIP_1) | instid1(SALU_CYCLE_1)
	s_cmp_lg_u32 s2, 0
	s_add_co_ci_u32 s15, s15, s23
	s_mul_u64 s[20:21], s[20:21], s[14:15]
	s_delay_alu instid0(SALU_CYCLE_1)
	s_mul_hi_u32 s23, s14, s21
	s_mul_i32 s22, s14, s21
	s_mul_hi_u32 s24, s14, s20
	s_mul_i32 s9, s15, s20
	s_add_nc_u64 s[22:23], s[24:25], s[22:23]
	s_mul_hi_u32 s2, s15, s20
	s_mul_hi_u32 s26, s15, s21
	s_add_co_u32 s9, s22, s9
	s_add_co_ci_u32 s24, s23, s2
	s_mul_i32 s20, s15, s21
	s_add_co_ci_u32 s21, s26, 0
	s_delay_alu instid0(SALU_CYCLE_1) | instskip(NEXT) | instid1(SALU_CYCLE_1)
	s_add_nc_u64 s[20:21], s[24:25], s[20:21]
	s_add_co_u32 s2, s14, s20
	s_cselect_b32 s9, -1, 0
	v_mul_hi_u32 v24, v16, s2
	s_cmp_lg_u32 s9, 0
	s_add_co_ci_u32 s24, s15, s21
	s_mov_b64 s[14:15], 0xffffffff
	v_mul_u64_e32 v[20:21], s[24:25], v[16:17]
	s_and_b64 s[14:15], s[2:3], s[14:15]
	v_mul_u64_e32 v[22:23], s[24:25], v[18:19]
	v_mul_u64_e32 v[14:15], s[14:15], v[18:19]
	s_delay_alu instid0(VALU_DEP_3) | instskip(NEXT) | instid1(VALU_DEP_1)
	v_add_nc_u64_e32 v[20:21], v[24:25], v[20:21]
	v_add_co_u32 v9, vcc_lo, v20, v14
	s_delay_alu instid0(VALU_DEP_2) | instskip(SKIP_1) | instid1(VALU_DEP_1)
	v_add_co_ci_u32_e32 v12, vcc_lo, v21, v15, vcc_lo
	v_add_co_ci_u32_e32 v23, vcc_lo, 0, v23, vcc_lo
	v_add_nc_u64_e32 v[12:13], v[12:13], v[22:23]
	s_delay_alu instid0(VALU_DEP_1) | instskip(NEXT) | instid1(VALU_DEP_1)
	v_mul_u64_e32 v[14:15], s[12:13], v[12:13]
	v_sub_co_u32 v11, vcc_lo, v16, v14
	v_add_nc_u64_e32 v[16:17], 1, v[12:13]
	s_delay_alu instid0(VALU_DEP_3) | instskip(SKIP_1) | instid1(VALU_DEP_4)
	v_sub_nc_u32_e32 v9, v18, v15
	v_sub_co_ci_u32_e64 v18, null, v18, v15, vcc_lo
	v_sub_co_u32 v14, s2, v11, s12
	s_delay_alu instid0(VALU_DEP_3) | instskip(NEXT) | instid1(VALU_DEP_2)
	v_subrev_co_ci_u32_e64 v9, null, s13, v9, vcc_lo
	v_cmp_le_u32_e32 vcc_lo, s12, v14
	s_delay_alu instid0(VALU_DEP_2) | instskip(SKIP_1) | instid1(VALU_DEP_2)
	v_subrev_co_ci_u32_e64 v9, null, 0, v9, s2
	v_cndmask_b32_e64 v14, 0, -1, vcc_lo
	v_cmp_le_u32_e32 vcc_lo, s13, v9
	v_cndmask_b32_e64 v15, 0, -1, vcc_lo
	v_cmp_le_u32_e32 vcc_lo, s12, v11
	;; [unrolled: 2-line block ×3, first 2 shown]
	v_cndmask_b32_e64 v19, 0, -1, vcc_lo
	v_cmp_eq_u32_e32 vcc_lo, s13, v9
	v_cndmask_b32_e32 v9, v15, v14, vcc_lo
	v_cmp_eq_u32_e32 vcc_lo, s13, v18
	v_add_nc_u64_e32 v[14:15], 2, v[12:13]
	v_cndmask_b32_e32 v11, v19, v11, vcc_lo
	s_delay_alu instid0(VALU_DEP_4) | instskip(NEXT) | instid1(VALU_DEP_2)
	v_cmp_ne_u32_e32 vcc_lo, 0, v9
	v_cmp_ne_u32_e64 s2, 0, v11
	s_delay_alu instid0(VALU_DEP_4) | instskip(NEXT) | instid1(VALU_DEP_1)
	v_dual_cndmask_b32 v9, v17, v15, vcc_lo :: v_dual_cndmask_b32 v11, v16, v14, vcc_lo
	v_dual_cndmask_b32 v12, v12, v11, s2 :: v_dual_mov_b32 v11, v10
	s_delay_alu instid0(VALU_DEP_1) | instskip(NEXT) | instid1(VALU_DEP_1)
	v_dual_cndmask_b32 v9, v13, v9, s2 :: v_dual_bitop2_b32 v12, v12, v10 bitop3:0x14
	v_xor_b32_e32 v13, v9, v10
	s_delay_alu instid0(VALU_DEP_1)
	v_sub_nc_u64_e32 v[10:11], v[12:13], v[10:11]
.LBB0_11:
	s_and_not1_saveexec_b32 s2, s3
	s_cbranch_execz .LBB0_13
; %bb.12:
	v_cvt_f32_u32_e32 v9, s10
	s_sub_co_i32 s3, 0, s10
	s_delay_alu instid0(VALU_DEP_1) | instskip(SKIP_1) | instid1(TRANS32_DEP_1)
	v_rcp_iflag_f32_e32 v9, v9
	v_nop
	v_mul_f32_e32 v9, 0x4f7ffffe, v9
	s_delay_alu instid0(VALU_DEP_1) | instskip(NEXT) | instid1(VALU_DEP_1)
	v_cvt_u32_f32_e32 v9, v9
	v_mul_lo_u32 v10, s3, v9
	s_delay_alu instid0(VALU_DEP_1) | instskip(NEXT) | instid1(VALU_DEP_1)
	v_mul_hi_u32 v10, v9, v10
	v_add_nc_u32_e32 v9, v9, v10
	s_delay_alu instid0(VALU_DEP_1) | instskip(NEXT) | instid1(VALU_DEP_1)
	v_mul_hi_u32 v9, v6, v9
	v_mul_lo_u32 v10, v9, s10
	s_delay_alu instid0(VALU_DEP_1) | instskip(NEXT) | instid1(VALU_DEP_1)
	v_dual_add_nc_u32 v11, 1, v9 :: v_dual_sub_nc_u32 v10, v6, v10
	v_subrev_nc_u32_e32 v12, s10, v10
	v_cmp_le_u32_e32 vcc_lo, s10, v10
	s_delay_alu instid0(VALU_DEP_2) | instskip(NEXT) | instid1(VALU_DEP_1)
	v_dual_cndmask_b32 v10, v10, v12 :: v_dual_cndmask_b32 v9, v9, v11
	v_cmp_le_u32_e32 vcc_lo, s10, v10
	s_delay_alu instid0(VALU_DEP_2) | instskip(NEXT) | instid1(VALU_DEP_1)
	v_add_nc_u32_e32 v11, 1, v9
	v_dual_cndmask_b32 v10, v9, v11 :: v_dual_mov_b32 v11, 0
.LBB0_13:
	s_or_b32 exec_lo, exec_lo, s2
	s_load_b512 s[36:51], s[0:1], 0x40
                                        ; implicit-def: $vgpr12_vgpr13
	s_mov_b32 s2, exec_lo
	v_mov_b32_e32 v14, 0
	s_wait_kmcnt 0x0
	s_mul_u64 s[8:9], s[42:43], s[40:41]
	s_delay_alu instid0(SALU_CYCLE_1) | instskip(NEXT) | instid1(SALU_CYCLE_1)
	s_mul_u64 s[12:13], s[8:9], s[44:45]
	v_or_b32_e32 v15, s13, v5
	s_delay_alu instid0(VALU_DEP_1)
	v_cmpx_ne_u64_e32 0, v[14:15]
	s_xor_b32 s3, exec_lo, s2
	s_cbranch_execz .LBB0_15
; %bb.14:
	s_ashr_i32 s14, s13, 31
	s_mov_b32 s29, 0
	s_mov_b32 s15, s14
	v_dual_mov_b32 v9, v8 :: v_dual_mov_b32 v17, v14
	s_add_nc_u64 s[20:21], s[12:13], s[14:15]
	v_mov_b32_e32 v15, v14
	s_xor_b64 s[20:21], s[20:21], s[14:15]
	s_delay_alu instid0(VALU_DEP_2) | instskip(SKIP_4) | instid1(SALU_CYCLE_1)
	v_add_nc_u64_e32 v[12:13], v[4:5], v[8:9]
	s_cvt_f32_u32 s2, s20
	s_cvt_f32_u32 s15, s21
	s_sub_nc_u64 s[24:25], 0, s[20:21]
	v_dual_mov_b32 v19, v14 :: v_dual_mov_b32 v25, v14
	s_fmamk_f32 s2, s15, 0x4f800000, s2
	s_delay_alu instid0(VALU_DEP_2) | instskip(SKIP_3) | instid1(TRANS32_DEP_1)
	v_xor_b32_e32 v16, v12, v8
	v_xor_b32_e32 v18, v13, v8
	;; [unrolled: 1-line block ×3, first 2 shown]
	v_s_rcp_f32 s2, s2
	s_mul_f32 s2, s2, 0x5f7ffffc
	s_delay_alu instid0(SALU_CYCLE_3) | instskip(NEXT) | instid1(SALU_CYCLE_3)
	s_mul_f32 s15, s2, 0x2f800000
	s_trunc_f32 s15, s15
	s_delay_alu instid0(SALU_CYCLE_3) | instskip(SKIP_1) | instid1(SALU_CYCLE_2)
	s_fmamk_f32 s2, s15, 0xcf800000, s2
	s_cvt_u32_f32 s23, s15
	s_cvt_u32_f32 s22, s2
	s_delay_alu instid0(SALU_CYCLE_3) | instskip(NEXT) | instid1(SALU_CYCLE_1)
	s_mul_u64 s[26:27], s[24:25], s[22:23]
	s_mul_hi_u32 s31, s22, s27
	s_mul_i32 s30, s22, s27
	s_mul_hi_u32 s28, s22, s26
	s_mul_i32 s15, s23, s26
	s_add_nc_u64 s[30:31], s[28:29], s[30:31]
	s_mul_hi_u32 s2, s23, s26
	s_mul_hi_u32 s33, s23, s27
	s_add_co_u32 s15, s30, s15
	s_add_co_ci_u32 s28, s31, s2
	s_mul_i32 s26, s23, s27
	s_add_co_ci_u32 s27, s33, 0
	s_delay_alu instid0(SALU_CYCLE_1) | instskip(NEXT) | instid1(SALU_CYCLE_1)
	s_add_nc_u64 s[26:27], s[28:29], s[26:27]
	s_add_co_u32 s22, s22, s26
	s_cselect_b32 s2, -1, 0
	s_delay_alu instid0(SALU_CYCLE_1) | instskip(SKIP_1) | instid1(SALU_CYCLE_1)
	s_cmp_lg_u32 s2, 0
	s_add_co_ci_u32 s23, s23, s27
	s_mul_u64 s[24:25], s[24:25], s[22:23]
	s_delay_alu instid0(SALU_CYCLE_1)
	s_mul_hi_u32 s27, s22, s25
	s_mul_i32 s26, s22, s25
	s_mul_hi_u32 s28, s22, s24
	s_mul_i32 s15, s23, s24
	s_add_nc_u64 s[26:27], s[28:29], s[26:27]
	s_mul_hi_u32 s2, s23, s24
	s_mul_hi_u32 s30, s23, s25
	s_add_co_u32 s15, s26, s15
	s_add_co_ci_u32 s28, s27, s2
	s_mul_i32 s24, s23, s25
	s_add_co_ci_u32 s25, s30, 0
	s_delay_alu instid0(SALU_CYCLE_1) | instskip(NEXT) | instid1(SALU_CYCLE_1)
	s_add_nc_u64 s[24:25], s[28:29], s[24:25]
	s_add_co_u32 s2, s22, s24
	s_cselect_b32 s15, -1, 0
	v_nop
	v_mul_hi_u32 v24, v16, s2
	s_cmp_lg_u32 s15, 0
	s_add_co_ci_u32 s28, s23, s25
	s_mov_b64 s[22:23], 0xffffffff
	v_mul_u64_e32 v[20:21], s[28:29], v[16:17]
	s_and_b64 s[22:23], s[2:3], s[22:23]
	v_mul_u64_e32 v[22:23], s[28:29], v[18:19]
	v_mul_u64_e32 v[12:13], s[22:23], v[18:19]
	s_delay_alu instid0(VALU_DEP_3) | instskip(NEXT) | instid1(VALU_DEP_1)
	v_add_nc_u64_e32 v[20:21], v[24:25], v[20:21]
	v_add_co_u32 v9, vcc_lo, v20, v12
	s_delay_alu instid0(VALU_DEP_2) | instskip(SKIP_1) | instid1(VALU_DEP_1)
	v_add_co_ci_u32_e32 v14, vcc_lo, v21, v13, vcc_lo
	v_add_co_ci_u32_e32 v23, vcc_lo, 0, v23, vcc_lo
	v_add_nc_u64_e32 v[12:13], v[14:15], v[22:23]
	s_delay_alu instid0(VALU_DEP_1) | instskip(NEXT) | instid1(VALU_DEP_1)
	v_mul_u64_e32 v[14:15], s[20:21], v[12:13]
	v_sub_nc_u32_e32 v9, v18, v15
	s_delay_alu instid0(VALU_DEP_2) | instskip(NEXT) | instid1(VALU_DEP_1)
	v_sub_co_u32 v14, vcc_lo, v16, v14
	v_sub_co_ci_u32_e64 v18, null, v18, v15, vcc_lo
	s_delay_alu instid0(VALU_DEP_3) | instskip(NEXT) | instid1(VALU_DEP_3)
	v_subrev_co_ci_u32_e64 v9, null, s21, v9, vcc_lo
	v_sub_co_u32 v16, s2, v14, s20
	s_delay_alu instid0(VALU_DEP_1) | instskip(NEXT) | instid1(VALU_DEP_2)
	v_subrev_co_ci_u32_e64 v9, null, 0, v9, s2
	v_cmp_le_u32_e32 vcc_lo, s20, v16
	v_cndmask_b32_e64 v15, 0, -1, vcc_lo
	s_delay_alu instid0(VALU_DEP_3)
	v_cmp_le_u32_e32 vcc_lo, s21, v9
	v_cndmask_b32_e64 v16, 0, -1, vcc_lo
	v_cmp_le_u32_e32 vcc_lo, s20, v14
	v_cndmask_b32_e64 v19, 0, -1, vcc_lo
	;; [unrolled: 2-line block ×3, first 2 shown]
	v_cmp_eq_u32_e32 vcc_lo, s21, v9
	v_cndmask_b32_e32 v9, v16, v15, vcc_lo
	v_cmp_eq_u32_e32 vcc_lo, s21, v18
	v_add_nc_u64_e32 v[14:15], 2, v[12:13]
	v_add_nc_u64_e32 v[16:17], 1, v[12:13]
	v_cndmask_b32_e32 v18, v20, v19, vcc_lo
	v_cmp_ne_u32_e32 vcc_lo, 0, v9
	s_delay_alu instid0(VALU_DEP_2) | instskip(NEXT) | instid1(VALU_DEP_4)
	v_cmp_ne_u32_e64 s2, 0, v18
	v_dual_cndmask_b32 v14, v16, v14 :: v_dual_cndmask_b32 v9, v17, v15
	s_delay_alu instid0(VALU_DEP_1) | instskip(SKIP_1) | instid1(VALU_DEP_2)
	v_dual_cndmask_b32 v12, v12, v14, s2 :: v_dual_cndmask_b32 v13, v13, v9, s2
	v_mov_b32_e32 v9, v8
	v_xor_b32_e32 v12, v12, v8
	s_delay_alu instid0(VALU_DEP_3) | instskip(NEXT) | instid1(VALU_DEP_1)
	v_xor_b32_e32 v13, v13, v8
	v_sub_nc_u64_e32 v[12:13], v[12:13], v[8:9]
.LBB0_15:
	s_and_not1_saveexec_b32 s2, s3
	s_cbranch_execz .LBB0_17
; %bb.16:
	v_cvt_f32_u32_e32 v8, s12
	s_sub_co_i32 s3, 0, s12
	s_delay_alu instid0(VALU_DEP_1) | instskip(SKIP_1) | instid1(TRANS32_DEP_1)
	v_rcp_iflag_f32_e32 v8, v8
	v_nop
	v_mul_f32_e32 v8, 0x4f7ffffe, v8
	s_delay_alu instid0(VALU_DEP_1) | instskip(NEXT) | instid1(VALU_DEP_1)
	v_cvt_u32_f32_e32 v8, v8
	v_mul_lo_u32 v9, s3, v8
	s_delay_alu instid0(VALU_DEP_1) | instskip(NEXT) | instid1(VALU_DEP_1)
	v_mul_hi_u32 v9, v8, v9
	v_add_nc_u32_e32 v8, v8, v9
	s_delay_alu instid0(VALU_DEP_1) | instskip(NEXT) | instid1(VALU_DEP_1)
	v_mul_hi_u32 v8, v4, v8
	v_mul_lo_u32 v9, v8, s12
	s_delay_alu instid0(VALU_DEP_1) | instskip(NEXT) | instid1(VALU_DEP_1)
	v_sub_nc_u32_e32 v9, v4, v9
	v_subrev_nc_u32_e32 v13, s12, v9
	v_cmp_le_u32_e32 vcc_lo, s12, v9
	s_delay_alu instid0(VALU_DEP_2) | instskip(NEXT) | instid1(VALU_DEP_1)
	v_dual_cndmask_b32 v9, v9, v13 :: v_dual_add_nc_u32 v12, 1, v8
	v_dual_cndmask_b32 v8, v8, v12 :: v_dual_mov_b32 v13, 0
	s_delay_alu instid0(VALU_DEP_2) | instskip(NEXT) | instid1(VALU_DEP_2)
	v_cmp_le_u32_e32 vcc_lo, s12, v9
	v_add_nc_u32_e32 v12, 1, v8
	s_delay_alu instid0(VALU_DEP_1)
	v_cndmask_b32_e32 v12, v8, v12, vcc_lo
.LBB0_17:
	s_or_b32 exec_lo, exec_lo, s2
	s_delay_alu instid0(VALU_DEP_1) | instskip(SKIP_2) | instid1(VALU_DEP_2)
	v_mul_u64_e32 v[8:9], s[12:13], v[12:13]
	s_mov_b32 s2, exec_lo
	v_mov_b32_e32 v14, 0
	v_sub_nc_u64_e32 v[8:9], v[4:5], v[8:9]
                                        ; implicit-def: $vgpr4_vgpr5
	s_delay_alu instid0(VALU_DEP_1) | instskip(NEXT) | instid1(VALU_DEP_1)
	v_or_b32_e32 v15, s9, v9
	v_cmpx_ne_u64_e32 0, v[14:15]
	s_xor_b32 s3, exec_lo, s2
	s_cbranch_execz .LBB0_19
; %bb.18:
	s_ashr_i32 s12, s9, 31
	s_mov_b32 s27, 0
	s_mov_b32 s13, s12
	v_dual_mov_b32 v19, v14 :: v_dual_ashrrev_i32 v4, 31, v9
	s_add_nc_u64 s[14:15], s[8:9], s[12:13]
	v_mov_b32_e32 v21, v14
	s_xor_b64 s[14:15], s[14:15], s[12:13]
	s_delay_alu instid0(VALU_DEP_2)
	v_mov_b32_e32 v5, v4
	s_cvt_f32_u32 s2, s14
	s_cvt_f32_u32 s13, s15
	s_sub_nc_u64 s[22:23], 0, s[14:15]
	v_mov_b32_e32 v27, v14
	v_add_nc_u64_e32 v[16:17], v[8:9], v[4:5]
	s_fmamk_f32 s2, s13, 0x4f800000, s2
	v_mov_b32_e32 v15, v14
	s_delay_alu instid0(SALU_CYCLE_2) | instskip(NEXT) | instid1(VALU_DEP_2)
	v_s_rcp_f32 s2, s2
	v_xor_b32_e32 v18, v16, v4
	s_delay_alu instid0(VALU_DEP_3) | instskip(SKIP_1) | instid1(TRANS32_DEP_1)
	v_xor_b32_e32 v20, v17, v4
	v_xor_b32_e32 v4, s12, v4
	s_mul_f32 s2, s2, 0x5f7ffffc
	s_delay_alu instid0(SALU_CYCLE_3) | instskip(NEXT) | instid1(SALU_CYCLE_3)
	s_mul_f32 s13, s2, 0x2f800000
	s_trunc_f32 s13, s13
	s_delay_alu instid0(SALU_CYCLE_3) | instskip(SKIP_1) | instid1(SALU_CYCLE_2)
	s_fmamk_f32 s2, s13, 0xcf800000, s2
	s_cvt_u32_f32 s21, s13
	s_cvt_u32_f32 s20, s2
	s_delay_alu instid0(SALU_CYCLE_3) | instskip(NEXT) | instid1(SALU_CYCLE_1)
	s_mul_u64 s[24:25], s[22:23], s[20:21]
	s_mul_hi_u32 s29, s20, s25
	s_mul_i32 s28, s20, s25
	s_mul_hi_u32 s26, s20, s24
	s_mul_i32 s13, s21, s24
	s_add_nc_u64 s[28:29], s[26:27], s[28:29]
	s_mul_hi_u32 s2, s21, s24
	s_mul_hi_u32 s30, s21, s25
	s_add_co_u32 s13, s28, s13
	s_add_co_ci_u32 s26, s29, s2
	s_mul_i32 s24, s21, s25
	s_add_co_ci_u32 s25, s30, 0
	s_delay_alu instid0(SALU_CYCLE_1) | instskip(NEXT) | instid1(SALU_CYCLE_1)
	s_add_nc_u64 s[24:25], s[26:27], s[24:25]
	s_add_co_u32 s20, s20, s24
	s_cselect_b32 s2, -1, 0
	s_delay_alu instid0(SALU_CYCLE_1) | instskip(SKIP_1) | instid1(SALU_CYCLE_1)
	s_cmp_lg_u32 s2, 0
	s_add_co_ci_u32 s21, s21, s25
	s_mul_u64 s[22:23], s[22:23], s[20:21]
	s_delay_alu instid0(SALU_CYCLE_1)
	s_mul_hi_u32 s25, s20, s23
	s_mul_i32 s24, s20, s23
	s_mul_hi_u32 s26, s20, s22
	s_mul_i32 s13, s21, s22
	s_add_nc_u64 s[24:25], s[26:27], s[24:25]
	s_mul_hi_u32 s2, s21, s22
	s_mul_hi_u32 s28, s21, s23
	s_add_co_u32 s13, s24, s13
	s_add_co_ci_u32 s26, s25, s2
	s_mul_i32 s22, s21, s23
	s_add_co_ci_u32 s23, s28, 0
	s_delay_alu instid0(SALU_CYCLE_1) | instskip(NEXT) | instid1(SALU_CYCLE_1)
	s_add_nc_u64 s[22:23], s[26:27], s[22:23]
	s_add_co_u32 s2, s20, s22
	s_cselect_b32 s13, -1, 0
	v_mul_hi_u32 v26, v18, s2
	s_cmp_lg_u32 s13, 0
	s_add_co_ci_u32 s26, s21, s23
	s_mov_b64 s[20:21], 0xffffffff
	v_mul_u64_e32 v[22:23], s[26:27], v[18:19]
	s_and_b64 s[20:21], s[2:3], s[20:21]
	v_mul_u64_e32 v[24:25], s[26:27], v[20:21]
	v_mul_u64_e32 v[16:17], s[20:21], v[20:21]
	s_delay_alu instid0(VALU_DEP_3) | instskip(NEXT) | instid1(VALU_DEP_1)
	v_add_nc_u64_e32 v[22:23], v[26:27], v[22:23]
	v_add_co_u32 v5, vcc_lo, v22, v16
	s_delay_alu instid0(VALU_DEP_2) | instskip(SKIP_1) | instid1(VALU_DEP_1)
	v_add_co_ci_u32_e32 v14, vcc_lo, v23, v17, vcc_lo
	v_add_co_ci_u32_e32 v25, vcc_lo, 0, v25, vcc_lo
	v_add_nc_u64_e32 v[14:15], v[14:15], v[24:25]
	s_delay_alu instid0(VALU_DEP_1) | instskip(NEXT) | instid1(VALU_DEP_1)
	v_mul_u64_e32 v[16:17], s[14:15], v[14:15]
	v_sub_nc_u32_e32 v5, v20, v17
	s_delay_alu instid0(VALU_DEP_2) | instskip(NEXT) | instid1(VALU_DEP_1)
	v_sub_co_u32 v16, vcc_lo, v18, v16
	v_sub_co_ci_u32_e64 v20, null, v20, v17, vcc_lo
	s_delay_alu instid0(VALU_DEP_3) | instskip(NEXT) | instid1(VALU_DEP_3)
	v_subrev_co_ci_u32_e64 v5, null, s15, v5, vcc_lo
	v_sub_co_u32 v18, s2, v16, s14
	s_delay_alu instid0(VALU_DEP_1) | instskip(NEXT) | instid1(VALU_DEP_2)
	v_subrev_co_ci_u32_e64 v5, null, 0, v5, s2
	v_cmp_le_u32_e32 vcc_lo, s14, v18
	v_cndmask_b32_e64 v17, 0, -1, vcc_lo
	s_delay_alu instid0(VALU_DEP_3)
	v_cmp_le_u32_e32 vcc_lo, s15, v5
	v_cndmask_b32_e64 v18, 0, -1, vcc_lo
	v_cmp_le_u32_e32 vcc_lo, s14, v16
	v_cndmask_b32_e64 v21, 0, -1, vcc_lo
	;; [unrolled: 2-line block ×3, first 2 shown]
	v_cmp_eq_u32_e32 vcc_lo, s15, v5
	v_cndmask_b32_e32 v5, v18, v17, vcc_lo
	v_cmp_eq_u32_e32 vcc_lo, s15, v20
	v_add_nc_u64_e32 v[16:17], 2, v[14:15]
	v_add_nc_u64_e32 v[18:19], 1, v[14:15]
	v_cndmask_b32_e32 v20, v22, v21, vcc_lo
	v_cmp_ne_u32_e32 vcc_lo, 0, v5
	s_delay_alu instid0(VALU_DEP_2) | instskip(NEXT) | instid1(VALU_DEP_4)
	v_cmp_ne_u32_e64 s2, 0, v20
	v_dual_cndmask_b32 v16, v18, v16 :: v_dual_cndmask_b32 v5, v19, v17
	s_delay_alu instid0(VALU_DEP_1) | instskip(NEXT) | instid1(VALU_DEP_1)
	v_dual_cndmask_b32 v14, v14, v16, s2 :: v_dual_cndmask_b32 v15, v15, v5, s2
	v_dual_mov_b32 v5, v4 :: v_dual_bitop2_b32 v14, v14, v4 bitop3:0x14
	s_delay_alu instid0(VALU_DEP_2) | instskip(NEXT) | instid1(VALU_DEP_1)
	v_xor_b32_e32 v15, v15, v4
	v_sub_nc_u64_e32 v[4:5], v[14:15], v[4:5]
.LBB0_19:
	s_and_not1_saveexec_b32 s2, s3
	s_cbranch_execz .LBB0_21
; %bb.20:
	v_cvt_f32_u32_e32 v4, s8
	s_sub_co_i32 s3, 0, s8
	s_delay_alu instid0(VALU_DEP_1) | instskip(SKIP_1) | instid1(TRANS32_DEP_1)
	v_rcp_iflag_f32_e32 v4, v4
	v_nop
	v_mul_f32_e32 v4, 0x4f7ffffe, v4
	s_delay_alu instid0(VALU_DEP_1) | instskip(NEXT) | instid1(VALU_DEP_1)
	v_cvt_u32_f32_e32 v4, v4
	v_mul_lo_u32 v5, s3, v4
	s_delay_alu instid0(VALU_DEP_1) | instskip(NEXT) | instid1(VALU_DEP_1)
	v_mul_hi_u32 v5, v4, v5
	v_add_nc_u32_e32 v4, v4, v5
	s_delay_alu instid0(VALU_DEP_1) | instskip(NEXT) | instid1(VALU_DEP_1)
	v_mul_hi_u32 v4, v8, v4
	v_mul_lo_u32 v5, v4, s8
	s_delay_alu instid0(VALU_DEP_1) | instskip(NEXT) | instid1(VALU_DEP_1)
	v_dual_add_nc_u32 v14, 1, v4 :: v_dual_sub_nc_u32 v5, v8, v5
	v_subrev_nc_u32_e32 v15, s8, v5
	v_cmp_le_u32_e32 vcc_lo, s8, v5
	s_delay_alu instid0(VALU_DEP_2) | instskip(NEXT) | instid1(VALU_DEP_1)
	v_dual_cndmask_b32 v5, v5, v15 :: v_dual_cndmask_b32 v4, v4, v14
	v_cmp_le_u32_e32 vcc_lo, s8, v5
	s_delay_alu instid0(VALU_DEP_2) | instskip(NEXT) | instid1(VALU_DEP_1)
	v_dual_mov_b32 v5, 0 :: v_dual_add_nc_u32 v14, 1, v4
	v_cndmask_b32_e32 v4, v4, v14, vcc_lo
.LBB0_21:
	s_or_b32 exec_lo, exec_lo, s2
	s_delay_alu instid0(VALU_DEP_1) | instskip(SKIP_1) | instid1(VALU_DEP_1)
	v_mul_u64_e32 v[14:15], s[8:9], v[4:5]
                                        ; implicit-def: $vgpr16_vgpr17
	s_mov_b32 s2, exec_lo
	v_sub_nc_u64_e32 v[8:9], v[8:9], v[14:15]
	s_delay_alu instid0(VALU_DEP_1) | instskip(NEXT) | instid1(VALU_DEP_1)
	v_dual_mov_b32 v14, 0 :: v_dual_bitop2_b32 v15, s41, v9 bitop3:0x54
	v_cmpx_ne_u64_e32 0, v[14:15]
	s_xor_b32 s3, exec_lo, s2
	s_cbranch_execz .LBB0_23
; %bb.22:
	s_ashr_i32 s8, s41, 31
	s_mov_b32 s25, 0
	s_mov_b32 s9, s8
	v_dual_mov_b32 v21, v14 :: v_dual_ashrrev_i32 v16, 31, v9
	s_add_nc_u64 s[12:13], s[40:41], s[8:9]
	v_dual_mov_b32 v29, v14 :: v_dual_mov_b32 v15, v14
	s_xor_b64 s[12:13], s[12:13], s[8:9]
	s_delay_alu instid0(VALU_DEP_2) | instskip(SKIP_3) | instid1(VALU_DEP_1)
	v_mov_b32_e32 v17, v16
	s_cvt_f32_u32 s2, s12
	s_cvt_f32_u32 s9, s13
	s_sub_nc_u64 s[20:21], 0, s[12:13]
	v_add_nc_u64_e32 v[18:19], v[8:9], v[16:17]
	s_delay_alu instid0(SALU_CYCLE_1) | instskip(SKIP_1) | instid1(SALU_CYCLE_2)
	s_fmamk_f32 s2, s9, 0x4f800000, s2
	v_mov_b32_e32 v23, v14
	v_s_rcp_f32 s2, s2
	s_delay_alu instid0(VALU_DEP_2) | instskip(NEXT) | instid1(VALU_DEP_3)
	v_xor_b32_e32 v20, v18, v16
	v_xor_b32_e32 v22, v19, v16
	;; [unrolled: 1-line block ×3, first 2 shown]
	s_delay_alu instid0(TRANS32_DEP_1) | instskip(NEXT) | instid1(SALU_CYCLE_3)
	s_mul_f32 s2, s2, 0x5f7ffffc
	s_mul_f32 s9, s2, 0x2f800000
	s_delay_alu instid0(SALU_CYCLE_3) | instskip(NEXT) | instid1(SALU_CYCLE_3)
	s_trunc_f32 s9, s9
	s_fmamk_f32 s2, s9, 0xcf800000, s2
	s_cvt_u32_f32 s15, s9
	s_delay_alu instid0(SALU_CYCLE_2) | instskip(NEXT) | instid1(SALU_CYCLE_3)
	s_cvt_u32_f32 s14, s2
	s_mul_u64 s[22:23], s[20:21], s[14:15]
	s_delay_alu instid0(SALU_CYCLE_1)
	s_mul_hi_u32 s27, s14, s23
	s_mul_i32 s26, s14, s23
	s_mul_hi_u32 s24, s14, s22
	s_mul_i32 s9, s15, s22
	s_add_nc_u64 s[26:27], s[24:25], s[26:27]
	s_mul_hi_u32 s2, s15, s22
	s_mul_hi_u32 s28, s15, s23
	s_add_co_u32 s9, s26, s9
	s_add_co_ci_u32 s24, s27, s2
	s_mul_i32 s22, s15, s23
	s_add_co_ci_u32 s23, s28, 0
	s_delay_alu instid0(SALU_CYCLE_1) | instskip(NEXT) | instid1(SALU_CYCLE_1)
	s_add_nc_u64 s[22:23], s[24:25], s[22:23]
	s_add_co_u32 s14, s14, s22
	s_cselect_b32 s2, -1, 0
	s_delay_alu instid0(SALU_CYCLE_1) | instskip(SKIP_1) | instid1(SALU_CYCLE_1)
	s_cmp_lg_u32 s2, 0
	s_add_co_ci_u32 s15, s15, s23
	s_mul_u64 s[20:21], s[20:21], s[14:15]
	s_delay_alu instid0(SALU_CYCLE_1)
	s_mul_hi_u32 s23, s14, s21
	s_mul_i32 s22, s14, s21
	s_mul_hi_u32 s24, s14, s20
	s_mul_i32 s9, s15, s20
	s_add_nc_u64 s[22:23], s[24:25], s[22:23]
	s_mul_hi_u32 s2, s15, s20
	s_mul_hi_u32 s26, s15, s21
	s_add_co_u32 s9, s22, s9
	s_add_co_ci_u32 s24, s23, s2
	s_mul_i32 s20, s15, s21
	s_add_co_ci_u32 s21, s26, 0
	s_delay_alu instid0(SALU_CYCLE_1) | instskip(NEXT) | instid1(SALU_CYCLE_1)
	s_add_nc_u64 s[20:21], s[24:25], s[20:21]
	s_add_co_u32 s2, s14, s20
	s_cselect_b32 s9, -1, 0
	v_mul_hi_u32 v28, v20, s2
	s_cmp_lg_u32 s9, 0
	s_add_co_ci_u32 s24, s15, s21
	s_mov_b64 s[14:15], 0xffffffff
	v_mul_u64_e32 v[24:25], s[24:25], v[20:21]
	s_and_b64 s[14:15], s[2:3], s[14:15]
	v_mul_u64_e32 v[26:27], s[24:25], v[22:23]
	v_mul_u64_e32 v[18:19], s[14:15], v[22:23]
	s_delay_alu instid0(VALU_DEP_3) | instskip(NEXT) | instid1(VALU_DEP_1)
	v_add_nc_u64_e32 v[24:25], v[28:29], v[24:25]
	v_add_co_u32 v14, vcc_lo, v24, v18
	s_delay_alu instid0(VALU_DEP_2) | instskip(SKIP_1) | instid1(VALU_DEP_1)
	v_add_co_ci_u32_e32 v14, vcc_lo, v25, v19, vcc_lo
	v_add_co_ci_u32_e32 v27, vcc_lo, 0, v27, vcc_lo
	v_add_nc_u64_e32 v[14:15], v[14:15], v[26:27]
	s_delay_alu instid0(VALU_DEP_1) | instskip(NEXT) | instid1(VALU_DEP_1)
	v_mul_u64_e32 v[18:19], s[12:13], v[14:15]
	v_sub_nc_u32_e32 v17, v22, v19
	s_delay_alu instid0(VALU_DEP_2) | instskip(NEXT) | instid1(VALU_DEP_1)
	v_sub_co_u32 v18, vcc_lo, v20, v18
	v_sub_co_ci_u32_e64 v22, null, v22, v19, vcc_lo
	s_delay_alu instid0(VALU_DEP_3) | instskip(NEXT) | instid1(VALU_DEP_3)
	v_subrev_co_ci_u32_e64 v17, null, s13, v17, vcc_lo
	v_sub_co_u32 v20, s2, v18, s12
	s_delay_alu instid0(VALU_DEP_1) | instskip(NEXT) | instid1(VALU_DEP_2)
	v_subrev_co_ci_u32_e64 v17, null, 0, v17, s2
	v_cmp_le_u32_e32 vcc_lo, s12, v20
	v_cndmask_b32_e64 v19, 0, -1, vcc_lo
	s_delay_alu instid0(VALU_DEP_3)
	v_cmp_le_u32_e32 vcc_lo, s13, v17
	v_cndmask_b32_e64 v20, 0, -1, vcc_lo
	v_cmp_le_u32_e32 vcc_lo, s12, v18
	v_cndmask_b32_e64 v23, 0, -1, vcc_lo
	;; [unrolled: 2-line block ×3, first 2 shown]
	v_cmp_eq_u32_e32 vcc_lo, s13, v17
	v_cndmask_b32_e32 v17, v20, v19, vcc_lo
	v_cmp_eq_u32_e32 vcc_lo, s13, v22
	v_add_nc_u64_e32 v[18:19], 2, v[14:15]
	v_add_nc_u64_e32 v[20:21], 1, v[14:15]
	v_cndmask_b32_e32 v22, v24, v23, vcc_lo
	v_cmp_ne_u32_e32 vcc_lo, 0, v17
	s_delay_alu instid0(VALU_DEP_2) | instskip(NEXT) | instid1(VALU_DEP_4)
	v_cmp_ne_u32_e64 s2, 0, v22
	v_dual_cndmask_b32 v18, v20, v18 :: v_dual_cndmask_b32 v17, v21, v19
	s_delay_alu instid0(VALU_DEP_1) | instskip(NEXT) | instid1(VALU_DEP_1)
	v_dual_cndmask_b32 v14, v14, v18, s2 :: v_dual_cndmask_b32 v15, v15, v17, s2
	v_dual_mov_b32 v17, v16 :: v_dual_bitop2_b32 v14, v14, v16 bitop3:0x14
	s_delay_alu instid0(VALU_DEP_2) | instskip(NEXT) | instid1(VALU_DEP_1)
	v_xor_b32_e32 v15, v15, v16
	v_sub_nc_u64_e32 v[16:17], v[14:15], v[16:17]
.LBB0_23:
	s_and_not1_saveexec_b32 s2, s3
	s_cbranch_execz .LBB0_25
; %bb.24:
	v_cvt_f32_u32_e32 v14, s40
	s_sub_co_i32 s3, 0, s40
	s_delay_alu instid0(VALU_DEP_1) | instskip(SKIP_1) | instid1(TRANS32_DEP_1)
	v_rcp_iflag_f32_e32 v14, v14
	v_nop
	v_mul_f32_e32 v14, 0x4f7ffffe, v14
	s_delay_alu instid0(VALU_DEP_1) | instskip(NEXT) | instid1(VALU_DEP_1)
	v_cvt_u32_f32_e32 v14, v14
	v_mul_lo_u32 v15, s3, v14
	s_delay_alu instid0(VALU_DEP_1) | instskip(NEXT) | instid1(VALU_DEP_1)
	v_mul_hi_u32 v15, v14, v15
	v_add_nc_u32_e32 v14, v14, v15
	s_delay_alu instid0(VALU_DEP_1) | instskip(NEXT) | instid1(VALU_DEP_1)
	v_mul_hi_u32 v14, v8, v14
	v_mul_lo_u32 v15, v14, s40
	s_delay_alu instid0(VALU_DEP_1) | instskip(NEXT) | instid1(VALU_DEP_1)
	v_dual_add_nc_u32 v16, 1, v14 :: v_dual_sub_nc_u32 v15, v8, v15
	v_subrev_nc_u32_e32 v17, s40, v15
	v_cmp_le_u32_e32 vcc_lo, s40, v15
	s_delay_alu instid0(VALU_DEP_2) | instskip(NEXT) | instid1(VALU_DEP_4)
	v_dual_cndmask_b32 v15, v15, v17, vcc_lo :: v_dual_mov_b32 v17, 0
	v_cndmask_b32_e32 v14, v14, v16, vcc_lo
	s_delay_alu instid0(VALU_DEP_2) | instskip(NEXT) | instid1(VALU_DEP_2)
	v_cmp_le_u32_e32 vcc_lo, s40, v15
	v_add_nc_u32_e32 v16, 1, v14
	s_delay_alu instid0(VALU_DEP_1)
	v_cndmask_b32_e32 v16, v14, v16, vcc_lo
.LBB0_25:
	s_or_b32 exec_lo, exec_lo, s2
	v_mul_u64_e32 v[14:15], s[10:11], v[10:11]
	s_load_b64 s[0:1], s[0:1], 0x80
	s_delay_alu instid0(VALU_DEP_1) | instskip(SKIP_1) | instid1(VALU_DEP_1)
	v_sub_nc_u64_e32 v[6:7], v[6:7], v[14:15]
	v_mul_u64_e32 v[14:15], s[40:41], v[16:17]
	v_sub_nc_u64_e32 v[8:9], v[8:9], v[14:15]
	s_delay_alu instid0(VALU_DEP_1) | instskip(NEXT) | instid1(VALU_DEP_1)
	v_dual_mov_b32 v15, 0 :: v_dual_ashrrev_i32 v14, 31, v9
	v_lshrrev_b32_e32 v14, 27, v14
	s_delay_alu instid0(VALU_DEP_1) | instskip(SKIP_1) | instid1(VALU_DEP_2)
	v_add_nc_u64_e32 v[8:9], v[8:9], v[14:15]
	v_mad_nc_u64_u32 v[14:15], v6, s16, s[4:5]
	v_ashrrev_i64 v[8:9], 5, v[8:9]
	s_delay_alu instid0(VALU_DEP_2) | instskip(NEXT) | instid1(VALU_DEP_1)
	v_mad_u32 v7, v7, s16, v15
	v_mad_u32 v15, v6, s17, v7
	s_delay_alu instid0(VALU_DEP_1) | instskip(NEXT) | instid1(VALU_DEP_1)
	v_mad_nc_u64_u32 v[6:7], v10, s18, v[14:15]
	v_mad_u32 v7, v11, s18, v7
	s_delay_alu instid0(VALU_DEP_1) | instskip(NEXT) | instid1(VALU_DEP_1)
	v_mad_u32 v7, v10, s19, v7
	v_mad_nc_u64_u32 v[6:7], v2, s36, v[6:7]
	s_delay_alu instid0(VALU_DEP_1) | instskip(NEXT) | instid1(VALU_DEP_1)
	v_mad_u32 v3, v3, s36, v7
	v_mad_u32 v7, v2, s37, v3
	s_delay_alu instid0(VALU_DEP_1) | instskip(NEXT) | instid1(VALU_DEP_1)
	v_mad_nc_u64_u32 v[30:31], v0, s38, v[6:7]
	v_mad_u32 v1, v1, s38, v31
	s_delay_alu instid0(VALU_DEP_1) | instskip(SKIP_1) | instid1(VALU_DEP_1)
	v_mad_u32 v31, v0, s39, v1
	v_mad_nc_u64_u32 v[0:1], v8, s46, s[6:7]
	v_mad_u32 v1, v9, s46, v1
	s_delay_alu instid0(VALU_DEP_1) | instskip(NEXT) | instid1(VALU_DEP_1)
	v_mad_u32 v1, v8, s47, v1
	v_mad_nc_u64_u32 v[0:1], v16, s48, v[0:1]
	s_delay_alu instid0(VALU_DEP_1) | instskip(NEXT) | instid1(VALU_DEP_1)
	v_mad_u32 v1, v17, s48, v1
	v_mad_u32 v1, v16, s49, v1
	s_clause 0x3
	global_load_b128 v[20:23], v[30:31], off offset:48
	global_load_b128 v[16:19], v[30:31], off offset:32
	;; [unrolled: 1-line block ×3, first 2 shown]
	global_load_b128 v[32:35], v[30:31], off
	v_mad_nc_u64_u32 v[0:1], v4, s50, v[0:1]
	s_delay_alu instid0(VALU_DEP_1) | instskip(NEXT) | instid1(VALU_DEP_1)
	v_mad_u32 v1, v5, s50, v1
	v_mad_u32 v1, v4, s51, v1
	s_wait_kmcnt 0x0
	s_delay_alu instid0(VALU_DEP_1) | instskip(NEXT) | instid1(VALU_DEP_1)
	v_mad_nc_u64_u32 v[28:29], v12, s0, v[0:1]
	v_mad_u32 v0, v13, s0, v29
	s_delay_alu instid0(VALU_DEP_1) | instskip(SKIP_2) | instid1(VALU_DEP_1)
	v_mad_u32 v29, v12, s1, v0
	s_wait_loadcnt 0x0
	v_max3_num_f32 v0, |v32|, 0, |v33|
	v_max3_num_f32 v0, v0, |v34|, |v35|
	s_delay_alu instid0(VALU_DEP_1) | instskip(NEXT) | instid1(VALU_DEP_1)
	v_max3_num_f32 v0, v0, |v24|, |v25|
	v_max3_num_f32 v0, v0, |v26|, |v27|
	s_delay_alu instid0(VALU_DEP_1) | instskip(NEXT) | instid1(VALU_DEP_1)
	v_max3_num_f32 v0, v0, |v16|, |v17|
	;; [unrolled: 3-line block ×3, first 2 shown]
	v_max3_num_f32 v36, v0, |v22|, |v23|
	s_clause 0x3
	global_load_b128 v[4:7], v[30:31], off offset:112
	global_load_b128 v[0:3], v[30:31], off offset:96
	;; [unrolled: 1-line block ×4, first 2 shown]
	s_wait_loadcnt 0x0
	v_max3_num_f32 v30, v36, |v12|, |v13|
	s_delay_alu instid0(VALU_DEP_1) | instskip(NEXT) | instid1(VALU_DEP_1)
	v_max3_num_f32 v30, v30, |v14|, |v15|
	v_max3_num_f32 v30, v30, |v8|, |v9|
	s_delay_alu instid0(VALU_DEP_1) | instskip(NEXT) | instid1(VALU_DEP_1)
	v_max3_num_f32 v30, v30, |v10|, |v11|
	;; [unrolled: 3-line block ×4, first 2 shown]
	v_div_scale_f32 v31, null, 0x42fe0000, 0x42fe0000, v30
	s_delay_alu instid0(VALU_DEP_1) | instskip(SKIP_1) | instid1(TRANS32_DEP_1)
	v_rcp_f32_e32 v36, v31
	v_nop
	v_fma_f32 v37, -v31, v36, 1.0
	s_delay_alu instid0(VALU_DEP_1) | instskip(SKIP_1) | instid1(VALU_DEP_1)
	v_fmac_f32_e32 v36, v37, v36
	v_div_scale_f32 v37, vcc_lo, v30, 0x42fe0000, v30
	v_mul_f32_e32 v38, v37, v36
	s_delay_alu instid0(VALU_DEP_1) | instskip(NEXT) | instid1(VALU_DEP_1)
	v_fma_f32 v39, -v31, v38, v37
	v_fmac_f32_e32 v38, v39, v36
	s_delay_alu instid0(VALU_DEP_1) | instskip(NEXT) | instid1(VALU_DEP_1)
	v_fma_f32 v31, -v31, v38, v37
	v_div_fmas_f32 v31, v31, v36, v38
	s_delay_alu instid0(VALU_DEP_1) | instskip(NEXT) | instid1(VALU_DEP_1)
	v_div_fixup_f32 v31, v31, 0x42fe0000, v30
	v_div_scale_f32 v30, null, v31, v31, 1.0
	v_cmp_neq_f32_e64 s0, 0, v31
	s_delay_alu instid0(VALU_DEP_2) | instskip(SKIP_1) | instid1(TRANS32_DEP_1)
	v_rcp_f32_e32 v36, v30
	v_nop
	v_fma_f32 v37, -v30, v36, 1.0
	s_delay_alu instid0(VALU_DEP_1) | instskip(SKIP_1) | instid1(VALU_DEP_1)
	v_fmac_f32_e32 v36, v37, v36
	v_div_scale_f32 v37, vcc_lo, 1.0, v31, 1.0
	v_mul_f32_e32 v38, v37, v36
	s_delay_alu instid0(VALU_DEP_1) | instskip(NEXT) | instid1(VALU_DEP_1)
	v_fma_f32 v39, -v30, v38, v37
	v_fmac_f32_e32 v38, v39, v36
	s_delay_alu instid0(VALU_DEP_1) | instskip(NEXT) | instid1(VALU_DEP_1)
	v_fma_f32 v30, -v30, v38, v37
	v_div_fmas_f32 v30, v30, v36, v38
	s_delay_alu instid0(VALU_DEP_1) | instskip(SKIP_1) | instid1(VALU_DEP_2)
	v_div_fixup_f32 v30, v30, v31, 1.0
	v_cvt_f16_f32_e32 v31, v31
	v_cndmask_b32_e64 v30, 0, v30, s0
	global_store_b16 v[28:29], v31, off
	v_pk_mul_f32 v[34:35], v[34:35], v[30:31] op_sel_hi:[1,0]
	v_pk_mul_f32 v[24:25], v[24:25], v[30:31] op_sel_hi:[1,0]
	;; [unrolled: 1-line block ×4, first 2 shown]
	s_wait_xcnt 0x0
	v_trunc_f32_e32 v31, v34
	s_delay_alu instid0(VALU_DEP_1) | instskip(NEXT) | instid1(VALU_DEP_1)
	v_sub_f32_e32 v36, v34, v31
	v_cmp_ge_f32_e64 s0, |v36|, 0.5
	s_delay_alu instid0(VALU_DEP_1) | instskip(NEXT) | instid1(VALU_DEP_1)
	v_cndmask_b32_e64 v36, 0, 1.0, s0
	v_bfi_b32 v34, 0x7fffffff, v36, v34
	s_delay_alu instid0(VALU_DEP_1) | instskip(SKIP_1) | instid1(VALU_DEP_1)
	v_add_f32_e32 v31, v31, v34
	v_trunc_f32_e32 v34, v35
	v_sub_f32_e32 v36, v35, v34
	s_delay_alu instid0(VALU_DEP_1) | instskip(NEXT) | instid1(VALU_DEP_1)
	v_cmp_ge_f32_e64 s0, |v36|, 0.5
	v_cndmask_b32_e64 v36, 0, 1.0, s0
	s_delay_alu instid0(VALU_DEP_1) | instskip(NEXT) | instid1(VALU_DEP_1)
	v_bfi_b32 v35, 0x7fffffff, v36, v35
	v_add_f32_e32 v34, v34, v35
	v_trunc_f32_e32 v35, v32
	s_delay_alu instid0(VALU_DEP_1)
	v_sub_f32_e32 v36, v32, v35
	v_pk_mul_f32 v[18:19], v[18:19], v[30:31] op_sel_hi:[1,0]
	v_pk_mul_f32 v[16:17], v[16:17], v[30:31] op_sel_hi:[1,0]
	;; [unrolled: 1-line block ×4, first 2 shown]
	v_cmp_ge_f32_e64 s0, |v36|, 0.5
	v_pk_mul_f32 v[14:15], v[14:15], v[30:31] op_sel_hi:[1,0]
	v_pk_mul_f32 v[12:13], v[12:13], v[30:31] op_sel_hi:[1,0]
	;; [unrolled: 1-line block ×4, first 2 shown]
	v_cndmask_b32_e64 v36, 0, 1.0, s0
	v_pk_mul_f32 v[2:3], v[2:3], v[30:31] op_sel_hi:[1,0]
	v_pk_mul_f32 v[0:1], v[0:1], v[30:31] op_sel_hi:[1,0]
	;; [unrolled: 1-line block ×4, first 2 shown]
	v_bfi_b32 v32, 0x7fffffff, v36, v32
	s_delay_alu instid0(VALU_DEP_1) | instskip(SKIP_1) | instid1(VALU_DEP_1)
	v_add_f32_e32 v32, v35, v32
	v_trunc_f32_e32 v35, v33
	v_sub_f32_e32 v36, v33, v35
	s_delay_alu instid0(VALU_DEP_1) | instskip(NEXT) | instid1(VALU_DEP_1)
	v_cmp_ge_f32_e64 s0, |v36|, 0.5
	v_cndmask_b32_e64 v36, 0, 1.0, s0
	s_delay_alu instid0(VALU_DEP_1) | instskip(NEXT) | instid1(VALU_DEP_1)
	v_bfi_b32 v33, 0x7fffffff, v36, v33
	v_add_f32_e32 v33, v35, v33
	v_trunc_f32_e32 v35, v26
	s_delay_alu instid0(VALU_DEP_1) | instskip(NEXT) | instid1(VALU_DEP_1)
	v_sub_f32_e32 v36, v26, v35
	v_cmp_ge_f32_e64 s0, |v36|, 0.5
	s_delay_alu instid0(VALU_DEP_1) | instskip(NEXT) | instid1(VALU_DEP_1)
	v_cndmask_b32_e64 v36, 0, 1.0, s0
	v_bfi_b32 v26, 0x7fffffff, v36, v26
	s_delay_alu instid0(VALU_DEP_1) | instskip(SKIP_1) | instid1(VALU_DEP_2)
	v_add_f32_e32 v26, v35, v26
	v_trunc_f32_e32 v35, v27
	v_cvt_i32_f32_e32 v26, v26
	s_delay_alu instid0(VALU_DEP_2) | instskip(NEXT) | instid1(VALU_DEP_1)
	v_sub_f32_e32 v36, v27, v35
	v_cmp_ge_f32_e64 s0, |v36|, 0.5
	s_delay_alu instid0(VALU_DEP_1) | instskip(NEXT) | instid1(VALU_DEP_1)
	v_cndmask_b32_e64 v36, 0, 1.0, s0
	v_bfi_b32 v27, 0x7fffffff, v36, v27
	s_delay_alu instid0(VALU_DEP_1) | instskip(SKIP_1) | instid1(VALU_DEP_1)
	v_add_f32_e32 v27, v35, v27
	v_trunc_f32_e32 v35, v24
	v_sub_f32_e32 v36, v24, v35
	s_delay_alu instid0(VALU_DEP_1) | instskip(NEXT) | instid1(VALU_DEP_1)
	v_cmp_ge_f32_e64 s0, |v36|, 0.5
	v_cndmask_b32_e64 v36, 0, 1.0, s0
	s_delay_alu instid0(VALU_DEP_1) | instskip(NEXT) | instid1(VALU_DEP_1)
	v_bfi_b32 v24, 0x7fffffff, v36, v24
	v_add_f32_e32 v24, v35, v24
	v_trunc_f32_e32 v35, v25
	s_delay_alu instid0(VALU_DEP_2) | instskip(NEXT) | instid1(VALU_DEP_2)
	v_cvt_i32_f32_e32 v24, v24
	v_sub_f32_e32 v36, v25, v35
	s_delay_alu instid0(VALU_DEP_1) | instskip(NEXT) | instid1(VALU_DEP_1)
	v_cmp_ge_f32_e64 s0, |v36|, 0.5
	v_cndmask_b32_e64 v36, 0, 1.0, s0
	s_delay_alu instid0(VALU_DEP_1) | instskip(NEXT) | instid1(VALU_DEP_1)
	v_bfi_b32 v25, 0x7fffffff, v36, v25
	v_add_f32_e32 v25, v35, v25
	s_delay_alu instid0(VALU_DEP_1) | instskip(NEXT) | instid1(VALU_DEP_1)
	v_cvt_i32_f32_e32 v25, v25
	v_lshlrev_b16 v25, 8, v25
	s_delay_alu instid0(VALU_DEP_1) | instskip(SKIP_2) | instid1(VALU_DEP_3)
	v_bitop3_b16 v24, v24, v25, 0xff bitop3:0xec
	v_cvt_i32_f32_e32 v25, v27
	v_cvt_i32_f32_e32 v27, v31
	v_and_b32_e32 v24, 0xffff, v24
	s_delay_alu instid0(VALU_DEP_3) | instskip(NEXT) | instid1(VALU_DEP_1)
	v_lshlrev_b16 v25, 8, v25
	v_bitop3_b16 v25, v26, v25, 0xff bitop3:0xec
	v_cvt_i32_f32_e32 v26, v32
	s_delay_alu instid0(VALU_DEP_2) | instskip(NEXT) | instid1(VALU_DEP_1)
	v_lshlrev_b32_e32 v25, 16, v25
	v_or_b32_e32 v25, v24, v25
	v_cvt_i32_f32_e32 v24, v33
	s_delay_alu instid0(VALU_DEP_1) | instskip(NEXT) | instid1(VALU_DEP_1)
	v_lshlrev_b16 v24, 8, v24
	v_bitop3_b16 v24, v26, v24, 0xff bitop3:0xec
	v_cvt_i32_f32_e32 v26, v34
	s_delay_alu instid0(VALU_DEP_2) | instskip(NEXT) | instid1(VALU_DEP_2)
	v_and_b32_e32 v24, 0xffff, v24
	v_lshlrev_b16 v26, 8, v26
	s_delay_alu instid0(VALU_DEP_1) | instskip(NEXT) | instid1(VALU_DEP_1)
	v_bitop3_b16 v26, v27, v26, 0xff bitop3:0xec
	v_lshlrev_b32_e32 v26, 16, v26
	s_delay_alu instid0(VALU_DEP_1) | instskip(SKIP_1) | instid1(VALU_DEP_1)
	v_or_b32_e32 v24, v24, v26
	v_trunc_f32_e32 v26, v18
	v_sub_f32_e32 v27, v18, v26
	s_delay_alu instid0(VALU_DEP_1) | instskip(NEXT) | instid1(VALU_DEP_1)
	v_cmp_ge_f32_e64 s0, |v27|, 0.5
	v_cndmask_b32_e64 v27, 0, 1.0, s0
	s_delay_alu instid0(VALU_DEP_1) | instskip(NEXT) | instid1(VALU_DEP_1)
	v_bfi_b32 v18, 0x7fffffff, v27, v18
	v_add_f32_e32 v18, v26, v18
	v_trunc_f32_e32 v26, v19
	s_delay_alu instid0(VALU_DEP_1) | instskip(NEXT) | instid1(VALU_DEP_1)
	v_sub_f32_e32 v27, v19, v26
	v_cmp_ge_f32_e64 s0, |v27|, 0.5
	s_delay_alu instid0(VALU_DEP_1) | instskip(NEXT) | instid1(VALU_DEP_1)
	v_cndmask_b32_e64 v27, 0, 1.0, s0
	v_bfi_b32 v19, 0x7fffffff, v27, v19
	s_delay_alu instid0(VALU_DEP_1) | instskip(SKIP_2) | instid1(VALU_DEP_2)
	v_add_f32_e32 v19, v26, v19
	v_trunc_f32_e32 v26, v16
	v_cvt_i32_f32_e32 v18, v18
	v_sub_f32_e32 v27, v16, v26
	s_delay_alu instid0(VALU_DEP_1) | instskip(NEXT) | instid1(VALU_DEP_1)
	v_cmp_ge_f32_e64 s0, |v27|, 0.5
	v_cndmask_b32_e64 v27, 0, 1.0, s0
	s_delay_alu instid0(VALU_DEP_1) | instskip(NEXT) | instid1(VALU_DEP_1)
	v_bfi_b32 v16, 0x7fffffff, v27, v16
	v_add_f32_e32 v16, v26, v16
	v_trunc_f32_e32 v26, v17
	s_delay_alu instid0(VALU_DEP_2) | instskip(NEXT) | instid1(VALU_DEP_2)
	v_cvt_i32_f32_e32 v16, v16
	v_sub_f32_e32 v27, v17, v26
	s_delay_alu instid0(VALU_DEP_1) | instskip(NEXT) | instid1(VALU_DEP_1)
	v_cmp_ge_f32_e64 s0, |v27|, 0.5
	v_cndmask_b32_e64 v27, 0, 1.0, s0
	s_delay_alu instid0(VALU_DEP_1) | instskip(NEXT) | instid1(VALU_DEP_1)
	v_bfi_b32 v17, 0x7fffffff, v27, v17
	v_add_f32_e32 v17, v26, v17
	v_trunc_f32_e32 v26, v22
	s_delay_alu instid0(VALU_DEP_2) | instskip(NEXT) | instid1(VALU_DEP_1)
	v_cvt_i32_f32_e32 v17, v17
	v_lshlrev_b16 v17, 8, v17
	s_delay_alu instid0(VALU_DEP_1) | instskip(SKIP_1) | instid1(VALU_DEP_2)
	v_bitop3_b16 v16, v16, v17, 0xff bitop3:0xec
	v_cvt_i32_f32_e32 v17, v19
	v_and_b32_e32 v16, 0xffff, v16
	s_delay_alu instid0(VALU_DEP_2) | instskip(NEXT) | instid1(VALU_DEP_1)
	v_lshlrev_b16 v17, 8, v17
	v_bitop3_b16 v17, v18, v17, 0xff bitop3:0xec
	s_delay_alu instid0(VALU_DEP_1) | instskip(NEXT) | instid1(VALU_DEP_1)
	v_dual_sub_f32 v27, v22, v26 :: v_dual_lshlrev_b32 v17, 16, v17
	v_cmp_ge_f32_e64 s0, |v27|, 0.5
	s_delay_alu instid0(VALU_DEP_1) | instskip(NEXT) | instid1(VALU_DEP_1)
	v_cndmask_b32_e64 v27, 0, 1.0, s0
	v_bfi_b32 v22, 0x7fffffff, v27, v22
	s_delay_alu instid0(VALU_DEP_1) | instskip(SKIP_1) | instid1(VALU_DEP_1)
	v_add_f32_e32 v22, v26, v22
	v_trunc_f32_e32 v26, v23
	v_sub_f32_e32 v27, v23, v26
	s_delay_alu instid0(VALU_DEP_1) | instskip(NEXT) | instid1(VALU_DEP_1)
	v_cmp_ge_f32_e64 s0, |v27|, 0.5
	v_cndmask_b32_e64 v27, 0, 1.0, s0
	s_delay_alu instid0(VALU_DEP_1) | instskip(NEXT) | instid1(VALU_DEP_1)
	v_bfi_b32 v23, 0x7fffffff, v27, v23
	v_add_f32_e32 v23, v26, v23
	v_trunc_f32_e32 v26, v20
	s_delay_alu instid0(VALU_DEP_1) | instskip(NEXT) | instid1(VALU_DEP_1)
	v_sub_f32_e32 v27, v20, v26
	v_cmp_ge_f32_e64 s0, |v27|, 0.5
	s_delay_alu instid0(VALU_DEP_1) | instskip(NEXT) | instid1(VALU_DEP_1)
	v_cndmask_b32_e64 v27, 0, 1.0, s0
	v_bfi_b32 v20, 0x7fffffff, v27, v20
	s_delay_alu instid0(VALU_DEP_1) | instskip(SKIP_2) | instid1(VALU_DEP_3)
	v_add_f32_e32 v20, v26, v20
	v_trunc_f32_e32 v26, v21
	v_cvt_i32_f32_e32 v22, v22
	v_cvt_i32_f32_e32 v20, v20
	s_delay_alu instid0(VALU_DEP_3) | instskip(NEXT) | instid1(VALU_DEP_1)
	v_sub_f32_e32 v27, v21, v26
	v_cmp_ge_f32_e64 s0, |v27|, 0.5
	s_delay_alu instid0(VALU_DEP_1) | instskip(NEXT) | instid1(VALU_DEP_1)
	v_cndmask_b32_e64 v27, 0, 1.0, s0
	v_bfi_b32 v21, 0x7fffffff, v27, v21
	s_delay_alu instid0(VALU_DEP_1) | instskip(SKIP_2) | instid1(VALU_DEP_3)
	v_add_f32_e32 v21, v26, v21
	v_or_b32_e32 v26, v16, v17
	v_trunc_f32_e32 v16, v14
	v_cvt_i32_f32_e32 v21, v21
	s_delay_alu instid0(VALU_DEP_2) | instskip(NEXT) | instid1(VALU_DEP_2)
	v_sub_f32_e32 v17, v14, v16
	v_lshlrev_b16 v21, 8, v21
	s_delay_alu instid0(VALU_DEP_2) | instskip(NEXT) | instid1(VALU_DEP_2)
	v_cmp_ge_f32_e64 s0, |v17|, 0.5
	v_bitop3_b16 v20, v20, v21, 0xff bitop3:0xec
	v_cvt_i32_f32_e32 v21, v23
	s_delay_alu instid0(VALU_DEP_3) | instskip(NEXT) | instid1(VALU_DEP_3)
	v_cndmask_b32_e64 v17, 0, 1.0, s0
	v_and_b32_e32 v20, 0xffff, v20
	s_delay_alu instid0(VALU_DEP_3) | instskip(NEXT) | instid1(VALU_DEP_3)
	v_lshlrev_b16 v21, 8, v21
	v_bfi_b32 v14, 0x7fffffff, v17, v14
	s_delay_alu instid0(VALU_DEP_2) | instskip(NEXT) | instid1(VALU_DEP_2)
	v_bitop3_b16 v21, v22, v21, 0xff bitop3:0xec
	v_add_f32_e32 v14, v16, v14
	v_trunc_f32_e32 v16, v15
	s_delay_alu instid0(VALU_DEP_1) | instskip(NEXT) | instid1(VALU_DEP_1)
	v_dual_lshlrev_b32 v21, 16, v21 :: v_dual_sub_f32 v17, v15, v16
	v_or_b32_e32 v27, v20, v21
	s_delay_alu instid0(VALU_DEP_2) | instskip(NEXT) | instid1(VALU_DEP_1)
	v_cmp_ge_f32_e64 s0, |v17|, 0.5
	v_cndmask_b32_e64 v17, 0, 1.0, s0
	s_delay_alu instid0(VALU_DEP_1) | instskip(NEXT) | instid1(VALU_DEP_1)
	v_bfi_b32 v15, 0x7fffffff, v17, v15
	v_add_f32_e32 v15, v16, v15
	v_trunc_f32_e32 v16, v12
	s_delay_alu instid0(VALU_DEP_1) | instskip(NEXT) | instid1(VALU_DEP_1)
	v_sub_f32_e32 v17, v12, v16
	v_cmp_ge_f32_e64 s0, |v17|, 0.5
	s_delay_alu instid0(VALU_DEP_1) | instskip(NEXT) | instid1(VALU_DEP_1)
	v_cndmask_b32_e64 v17, 0, 1.0, s0
	v_bfi_b32 v12, 0x7fffffff, v17, v12
	s_delay_alu instid0(VALU_DEP_1) | instskip(SKIP_1) | instid1(VALU_DEP_1)
	v_add_f32_e32 v12, v16, v12
	v_trunc_f32_e32 v16, v13
	v_sub_f32_e32 v17, v13, v16
	s_delay_alu instid0(VALU_DEP_1) | instskip(NEXT) | instid1(VALU_DEP_1)
	v_cmp_ge_f32_e64 s0, |v17|, 0.5
	v_cndmask_b32_e64 v17, 0, 1.0, s0
	s_delay_alu instid0(VALU_DEP_1) | instskip(NEXT) | instid1(VALU_DEP_1)
	v_bfi_b32 v13, 0x7fffffff, v17, v13
	v_add_f32_e32 v13, v16, v13
	v_trunc_f32_e32 v16, v10
	s_delay_alu instid0(VALU_DEP_1) | instskip(NEXT) | instid1(VALU_DEP_1)
	v_sub_f32_e32 v17, v10, v16
	v_cmp_ge_f32_e64 s0, |v17|, 0.5
	s_delay_alu instid0(VALU_DEP_1) | instskip(NEXT) | instid1(VALU_DEP_1)
	v_cndmask_b32_e64 v17, 0, 1.0, s0
	v_bfi_b32 v10, 0x7fffffff, v17, v10
	s_delay_alu instid0(VALU_DEP_1) | instskip(SKIP_1) | instid1(VALU_DEP_2)
	v_add_f32_e32 v10, v16, v10
	v_trunc_f32_e32 v16, v11
	v_cvt_i32_f32_e32 v10, v10
	s_delay_alu instid0(VALU_DEP_2) | instskip(NEXT) | instid1(VALU_DEP_1)
	v_sub_f32_e32 v17, v11, v16
	v_cmp_ge_f32_e64 s0, |v17|, 0.5
	s_delay_alu instid0(VALU_DEP_1) | instskip(NEXT) | instid1(VALU_DEP_1)
	v_cndmask_b32_e64 v17, 0, 1.0, s0
	v_bfi_b32 v11, 0x7fffffff, v17, v11
	s_delay_alu instid0(VALU_DEP_1) | instskip(SKIP_1) | instid1(VALU_DEP_1)
	v_add_f32_e32 v11, v16, v11
	v_trunc_f32_e32 v16, v8
	v_sub_f32_e32 v17, v8, v16
	s_delay_alu instid0(VALU_DEP_1) | instskip(NEXT) | instid1(VALU_DEP_1)
	v_cmp_ge_f32_e64 s0, |v17|, 0.5
	v_cndmask_b32_e64 v17, 0, 1.0, s0
	s_delay_alu instid0(VALU_DEP_1) | instskip(NEXT) | instid1(VALU_DEP_1)
	v_bfi_b32 v8, 0x7fffffff, v17, v8
	v_add_f32_e32 v8, v16, v8
	v_trunc_f32_e32 v16, v9
	s_delay_alu instid0(VALU_DEP_2) | instskip(NEXT) | instid1(VALU_DEP_2)
	v_cvt_i32_f32_e32 v8, v8
	v_sub_f32_e32 v17, v9, v16
	s_delay_alu instid0(VALU_DEP_1) | instskip(NEXT) | instid1(VALU_DEP_1)
	v_cmp_ge_f32_e64 s0, |v17|, 0.5
	v_cndmask_b32_e64 v17, 0, 1.0, s0
	s_delay_alu instid0(VALU_DEP_1) | instskip(NEXT) | instid1(VALU_DEP_1)
	v_bfi_b32 v9, 0x7fffffff, v17, v9
	v_add_f32_e32 v9, v16, v9
	s_delay_alu instid0(VALU_DEP_1) | instskip(NEXT) | instid1(VALU_DEP_1)
	v_cvt_i32_f32_e32 v9, v9
	v_lshlrev_b16 v9, 8, v9
	s_delay_alu instid0(VALU_DEP_1) | instskip(SKIP_2) | instid1(VALU_DEP_3)
	v_bitop3_b16 v8, v8, v9, 0xff bitop3:0xec
	v_cvt_i32_f32_e32 v9, v11
	v_cvt_i32_f32_e32 v11, v14
	v_and_b32_e32 v8, 0xffff, v8
	s_delay_alu instid0(VALU_DEP_3) | instskip(NEXT) | instid1(VALU_DEP_1)
	v_lshlrev_b16 v9, 8, v9
	v_bitop3_b16 v9, v10, v9, 0xff bitop3:0xec
	v_cvt_i32_f32_e32 v10, v12
	s_delay_alu instid0(VALU_DEP_2) | instskip(NEXT) | instid1(VALU_DEP_1)
	v_lshlrev_b32_e32 v9, 16, v9
	v_or_b32_e32 v9, v8, v9
	v_cvt_i32_f32_e32 v8, v13
	s_delay_alu instid0(VALU_DEP_1) | instskip(NEXT) | instid1(VALU_DEP_1)
	v_lshlrev_b16 v8, 8, v8
	v_bitop3_b16 v8, v10, v8, 0xff bitop3:0xec
	v_cvt_i32_f32_e32 v10, v15
	s_delay_alu instid0(VALU_DEP_2) | instskip(NEXT) | instid1(VALU_DEP_2)
	v_and_b32_e32 v8, 0xffff, v8
	v_lshlrev_b16 v10, 8, v10
	s_delay_alu instid0(VALU_DEP_1) | instskip(NEXT) | instid1(VALU_DEP_1)
	v_bitop3_b16 v10, v11, v10, 0xff bitop3:0xec
	v_lshlrev_b32_e32 v10, 16, v10
	s_delay_alu instid0(VALU_DEP_1) | instskip(SKIP_1) | instid1(VALU_DEP_1)
	v_or_b32_e32 v8, v8, v10
	v_trunc_f32_e32 v10, v2
	v_sub_f32_e32 v11, v2, v10
	s_delay_alu instid0(VALU_DEP_1) | instskip(NEXT) | instid1(VALU_DEP_1)
	v_cmp_ge_f32_e64 s0, |v11|, 0.5
	v_cndmask_b32_e64 v11, 0, 1.0, s0
	s_delay_alu instid0(VALU_DEP_1) | instskip(NEXT) | instid1(VALU_DEP_1)
	v_bfi_b32 v2, 0x7fffffff, v11, v2
	v_add_f32_e32 v2, v10, v2
	v_trunc_f32_e32 v10, v3
	s_delay_alu instid0(VALU_DEP_1) | instskip(NEXT) | instid1(VALU_DEP_1)
	v_sub_f32_e32 v11, v3, v10
	v_cmp_ge_f32_e64 s0, |v11|, 0.5
	s_delay_alu instid0(VALU_DEP_1) | instskip(NEXT) | instid1(VALU_DEP_1)
	v_cndmask_b32_e64 v11, 0, 1.0, s0
	v_bfi_b32 v3, 0x7fffffff, v11, v3
	s_delay_alu instid0(VALU_DEP_1) | instskip(SKIP_2) | instid1(VALU_DEP_2)
	v_add_f32_e32 v3, v10, v3
	v_trunc_f32_e32 v10, v0
	v_cvt_i32_f32_e32 v2, v2
	v_sub_f32_e32 v11, v0, v10
	s_delay_alu instid0(VALU_DEP_1) | instskip(NEXT) | instid1(VALU_DEP_1)
	v_cmp_ge_f32_e64 s0, |v11|, 0.5
	v_cndmask_b32_e64 v11, 0, 1.0, s0
	s_delay_alu instid0(VALU_DEP_1) | instskip(NEXT) | instid1(VALU_DEP_1)
	v_bfi_b32 v0, 0x7fffffff, v11, v0
	v_add_f32_e32 v0, v10, v0
	v_trunc_f32_e32 v10, v1
	s_delay_alu instid0(VALU_DEP_2) | instskip(NEXT) | instid1(VALU_DEP_2)
	v_cvt_i32_f32_e32 v0, v0
	v_sub_f32_e32 v11, v1, v10
	s_delay_alu instid0(VALU_DEP_1) | instskip(NEXT) | instid1(VALU_DEP_1)
	v_cmp_ge_f32_e64 s0, |v11|, 0.5
	v_cndmask_b32_e64 v11, 0, 1.0, s0
	s_delay_alu instid0(VALU_DEP_1) | instskip(NEXT) | instid1(VALU_DEP_1)
	v_bfi_b32 v1, 0x7fffffff, v11, v1
	v_add_f32_e32 v1, v10, v1
	v_trunc_f32_e32 v10, v6
	s_delay_alu instid0(VALU_DEP_2) | instskip(NEXT) | instid1(VALU_DEP_1)
	v_cvt_i32_f32_e32 v1, v1
	v_lshlrev_b16 v1, 8, v1
	s_delay_alu instid0(VALU_DEP_1) | instskip(SKIP_1) | instid1(VALU_DEP_2)
	v_bitop3_b16 v0, v0, v1, 0xff bitop3:0xec
	v_cvt_i32_f32_e32 v1, v3
	v_and_b32_e32 v0, 0xffff, v0
	s_delay_alu instid0(VALU_DEP_2) | instskip(NEXT) | instid1(VALU_DEP_1)
	v_lshlrev_b16 v1, 8, v1
	v_bitop3_b16 v1, v2, v1, 0xff bitop3:0xec
	s_delay_alu instid0(VALU_DEP_1) | instskip(NEXT) | instid1(VALU_DEP_1)
	v_dual_sub_f32 v11, v6, v10 :: v_dual_lshlrev_b32 v1, 16, v1
	v_cmp_ge_f32_e64 s0, |v11|, 0.5
	s_delay_alu instid0(VALU_DEP_1) | instskip(NEXT) | instid1(VALU_DEP_1)
	v_cndmask_b32_e64 v11, 0, 1.0, s0
	v_bfi_b32 v6, 0x7fffffff, v11, v6
	s_delay_alu instid0(VALU_DEP_1) | instskip(SKIP_1) | instid1(VALU_DEP_1)
	v_add_f32_e32 v6, v10, v6
	v_trunc_f32_e32 v10, v7
	v_sub_f32_e32 v11, v7, v10
	s_delay_alu instid0(VALU_DEP_1) | instskip(NEXT) | instid1(VALU_DEP_1)
	v_cmp_ge_f32_e64 s0, |v11|, 0.5
	v_cndmask_b32_e64 v11, 0, 1.0, s0
	s_delay_alu instid0(VALU_DEP_1) | instskip(NEXT) | instid1(VALU_DEP_1)
	v_bfi_b32 v7, 0x7fffffff, v11, v7
	v_add_f32_e32 v7, v10, v7
	v_trunc_f32_e32 v10, v4
	s_delay_alu instid0(VALU_DEP_1) | instskip(NEXT) | instid1(VALU_DEP_1)
	v_sub_f32_e32 v11, v4, v10
	v_cmp_ge_f32_e64 s0, |v11|, 0.5
	s_delay_alu instid0(VALU_DEP_1) | instskip(NEXT) | instid1(VALU_DEP_1)
	v_cndmask_b32_e64 v11, 0, 1.0, s0
	v_bfi_b32 v4, 0x7fffffff, v11, v4
	s_delay_alu instid0(VALU_DEP_1) | instskip(SKIP_2) | instid1(VALU_DEP_3)
	v_add_f32_e32 v4, v10, v4
	v_trunc_f32_e32 v10, v5
	v_cvt_i32_f32_e32 v6, v6
	v_cvt_i32_f32_e32 v4, v4
	s_delay_alu instid0(VALU_DEP_3) | instskip(NEXT) | instid1(VALU_DEP_1)
	v_sub_f32_e32 v11, v5, v10
	v_cmp_ge_f32_e64 s0, |v11|, 0.5
	s_delay_alu instid0(VALU_DEP_1) | instskip(NEXT) | instid1(VALU_DEP_1)
	v_cndmask_b32_e64 v11, 0, 1.0, s0
	v_bfi_b32 v5, 0x7fffffff, v11, v5
	s_delay_alu instid0(VALU_DEP_1) | instskip(SKIP_1) | instid1(VALU_DEP_2)
	v_add_f32_e32 v5, v10, v5
	v_or_b32_e32 v10, v0, v1
	v_cvt_i32_f32_e32 v5, v5
	s_delay_alu instid0(VALU_DEP_1) | instskip(NEXT) | instid1(VALU_DEP_1)
	v_lshlrev_b16 v5, 8, v5
	v_bitop3_b16 v4, v4, v5, 0xff bitop3:0xec
	v_cvt_i32_f32_e32 v5, v7
	s_delay_alu instid0(VALU_DEP_2) | instskip(NEXT) | instid1(VALU_DEP_2)
	v_and_b32_e32 v4, 0xffff, v4
	v_lshlrev_b16 v5, 8, v5
	s_delay_alu instid0(VALU_DEP_1) | instskip(NEXT) | instid1(VALU_DEP_1)
	v_bitop3_b16 v5, v6, v5, 0xff bitop3:0xec
	v_lshlrev_b32_e32 v5, 16, v5
	s_delay_alu instid0(VALU_DEP_1)
	v_or_b32_e32 v11, v4, v5
	s_clause 0x1
	global_store_b128 v[28:29], v[24:27], off offset:2
	global_store_b128 v[28:29], v[8:11], off offset:18
.LBB0_26:
	s_endpgm
	.section	.rodata,"a",@progbits
	.p2align	6, 0x0
	.amdhsa_kernel _ZL9cpy_f32_qIXadL_ZL17cpy_blck_f32_q8_0PKcPcEELi32EEvS1_S2_lllllllllllllll
		.amdhsa_group_segment_fixed_size 0
		.amdhsa_private_segment_fixed_size 0
		.amdhsa_kernarg_size 392
		.amdhsa_user_sgpr_count 2
		.amdhsa_user_sgpr_dispatch_ptr 0
		.amdhsa_user_sgpr_queue_ptr 0
		.amdhsa_user_sgpr_kernarg_segment_ptr 1
		.amdhsa_user_sgpr_dispatch_id 0
		.amdhsa_user_sgpr_kernarg_preload_length 0
		.amdhsa_user_sgpr_kernarg_preload_offset 0
		.amdhsa_user_sgpr_private_segment_size 0
		.amdhsa_wavefront_size32 1
		.amdhsa_uses_dynamic_stack 0
		.amdhsa_enable_private_segment 0
		.amdhsa_system_sgpr_workgroup_id_x 1
		.amdhsa_system_sgpr_workgroup_id_y 0
		.amdhsa_system_sgpr_workgroup_id_z 0
		.amdhsa_system_sgpr_workgroup_info 0
		.amdhsa_system_vgpr_workitem_id 0
		.amdhsa_next_free_vgpr 40
		.amdhsa_next_free_sgpr 52
		.amdhsa_named_barrier_count 0
		.amdhsa_reserve_vcc 1
		.amdhsa_float_round_mode_32 0
		.amdhsa_float_round_mode_16_64 0
		.amdhsa_float_denorm_mode_32 3
		.amdhsa_float_denorm_mode_16_64 3
		.amdhsa_fp16_overflow 0
		.amdhsa_memory_ordered 1
		.amdhsa_forward_progress 1
		.amdhsa_inst_pref_size 63
		.amdhsa_round_robin_scheduling 0
		.amdhsa_exception_fp_ieee_invalid_op 0
		.amdhsa_exception_fp_denorm_src 0
		.amdhsa_exception_fp_ieee_div_zero 0
		.amdhsa_exception_fp_ieee_overflow 0
		.amdhsa_exception_fp_ieee_underflow 0
		.amdhsa_exception_fp_ieee_inexact 0
		.amdhsa_exception_int_div_zero 0
	.end_amdhsa_kernel
	.section	.text._ZL9cpy_f32_qIXadL_ZL17cpy_blck_f32_q8_0PKcPcEELi32EEvS1_S2_lllllllllllllll,"axG",@progbits,_ZL9cpy_f32_qIXadL_ZL17cpy_blck_f32_q8_0PKcPcEELi32EEvS1_S2_lllllllllllllll,comdat
.Lfunc_end0:
	.size	_ZL9cpy_f32_qIXadL_ZL17cpy_blck_f32_q8_0PKcPcEELi32EEvS1_S2_lllllllllllllll, .Lfunc_end0-_ZL9cpy_f32_qIXadL_ZL17cpy_blck_f32_q8_0PKcPcEELi32EEvS1_S2_lllllllllllllll
                                        ; -- End function
	.set _ZL9cpy_f32_qIXadL_ZL17cpy_blck_f32_q8_0PKcPcEELi32EEvS1_S2_lllllllllllllll.num_vgpr, 40
	.set _ZL9cpy_f32_qIXadL_ZL17cpy_blck_f32_q8_0PKcPcEELi32EEvS1_S2_lllllllllllllll.num_agpr, 0
	.set _ZL9cpy_f32_qIXadL_ZL17cpy_blck_f32_q8_0PKcPcEELi32EEvS1_S2_lllllllllllllll.numbered_sgpr, 52
	.set _ZL9cpy_f32_qIXadL_ZL17cpy_blck_f32_q8_0PKcPcEELi32EEvS1_S2_lllllllllllllll.num_named_barrier, 0
	.set _ZL9cpy_f32_qIXadL_ZL17cpy_blck_f32_q8_0PKcPcEELi32EEvS1_S2_lllllllllllllll.private_seg_size, 0
	.set _ZL9cpy_f32_qIXadL_ZL17cpy_blck_f32_q8_0PKcPcEELi32EEvS1_S2_lllllllllllllll.uses_vcc, 1
	.set _ZL9cpy_f32_qIXadL_ZL17cpy_blck_f32_q8_0PKcPcEELi32EEvS1_S2_lllllllllllllll.uses_flat_scratch, 0
	.set _ZL9cpy_f32_qIXadL_ZL17cpy_blck_f32_q8_0PKcPcEELi32EEvS1_S2_lllllllllllllll.has_dyn_sized_stack, 0
	.set _ZL9cpy_f32_qIXadL_ZL17cpy_blck_f32_q8_0PKcPcEELi32EEvS1_S2_lllllllllllllll.has_recursion, 0
	.set _ZL9cpy_f32_qIXadL_ZL17cpy_blck_f32_q8_0PKcPcEELi32EEvS1_S2_lllllllllllllll.has_indirect_call, 0
	.section	.AMDGPU.csdata,"",@progbits
; Kernel info:
; codeLenInByte = 7992
; TotalNumSgprs: 54
; NumVgprs: 40
; ScratchSize: 0
; MemoryBound: 0
; FloatMode: 240
; IeeeMode: 1
; LDSByteSize: 0 bytes/workgroup (compile time only)
; SGPRBlocks: 0
; VGPRBlocks: 2
; NumSGPRsForWavesPerEU: 54
; NumVGPRsForWavesPerEU: 40
; NamedBarCnt: 0
; Occupancy: 16
; WaveLimiterHint : 0
; COMPUTE_PGM_RSRC2:SCRATCH_EN: 0
; COMPUTE_PGM_RSRC2:USER_SGPR: 2
; COMPUTE_PGM_RSRC2:TRAP_HANDLER: 0
; COMPUTE_PGM_RSRC2:TGID_X_EN: 1
; COMPUTE_PGM_RSRC2:TGID_Y_EN: 0
; COMPUTE_PGM_RSRC2:TGID_Z_EN: 0
; COMPUTE_PGM_RSRC2:TIDIG_COMP_CNT: 0
	.section	.text._ZL9cpy_q_f32IXadL_ZL17cpy_blck_q8_0_f32PKcPcEELi32EEvS1_S2_lllllllllllllll,"axG",@progbits,_ZL9cpy_q_f32IXadL_ZL17cpy_blck_q8_0_f32PKcPcEELi32EEvS1_S2_lllllllllllllll,comdat
	.globl	_ZL9cpy_q_f32IXadL_ZL17cpy_blck_q8_0_f32PKcPcEELi32EEvS1_S2_lllllllllllllll ; -- Begin function _ZL9cpy_q_f32IXadL_ZL17cpy_blck_q8_0_f32PKcPcEELi32EEvS1_S2_lllllllllllllll
	.p2align	8
	.type	_ZL9cpy_q_f32IXadL_ZL17cpy_blck_q8_0_f32PKcPcEELi32EEvS1_S2_lllllllllllllll,@function
_ZL9cpy_q_f32IXadL_ZL17cpy_blck_q8_0_f32PKcPcEELi32EEvS1_S2_lllllllllllllll: ; @_ZL9cpy_q_f32IXadL_ZL17cpy_blck_q8_0_f32PKcPcEELi32EEvS1_S2_lllllllllllllll
; %bb.0:
	s_load_b32 s2, s[0:1], 0x94
	s_bfe_u32 s3, ttmp6, 0x4000c
	v_mov_b32_e32 v2, 0
	s_add_co_i32 s3, s3, 1
	s_and_b32 s4, ttmp6, 15
	s_mul_i32 s3, ttmp9, s3
	s_getreg_b32 s5, hwreg(HW_REG_IB_STS2, 6, 4)
	v_mov_b32_e32 v1, v2
	s_add_co_i32 s3, s4, s3
	s_wait_kmcnt 0x0
	s_and_b32 s2, s2, 0xffff
	s_cmp_eq_u32 s5, 0
	s_load_b512 s[4:19], s[0:1], 0x0
	s_cselect_b32 s3, ttmp9, s3
	s_delay_alu instid0(SALU_CYCLE_1) | instskip(SKIP_1) | instid1(VALU_DEP_1)
	v_mad_nc_u64_u32 v[0:1], s2, s3, v[0:1]
	s_mov_b32 s2, exec_lo
	v_lshlrev_b64_e32 v[4:5], 5, v[0:1]
	s_wait_kmcnt 0x0
	s_delay_alu instid0(VALU_DEP_1)
	v_cmpx_gt_i64_e64 s[8:9], v[4:5]
	s_cbranch_execz .LBB1_26
; %bb.1:
	s_mul_u64 s[8:9], s[12:13], s[10:11]
                                        ; implicit-def: $vgpr0_vgpr1
	s_mov_b32 s2, exec_lo
	s_mul_u64 s[12:13], s[8:9], s[14:15]
	s_delay_alu instid0(SALU_CYCLE_1) | instskip(NEXT) | instid1(VALU_DEP_1)
	v_dual_ashrrev_i32 v8, 31, v5 :: v_dual_bitop2_b32 v3, s13, v5 bitop3:0x54
	v_cmpx_ne_u64_e32 0, v[2:3]
	s_xor_b32 s3, exec_lo, s2
	s_cbranch_execz .LBB1_3
; %bb.2:
	s_ashr_i32 s14, s13, 31
	s_mov_b32 s29, 0
	s_mov_b32 s15, s14
	v_dual_mov_b32 v9, v8 :: v_dual_mov_b32 v3, 0
	s_add_nc_u64 s[20:21], s[12:13], s[14:15]
	s_delay_alu instid0(SALU_CYCLE_1) | instskip(NEXT) | instid1(VALU_DEP_1)
	s_xor_b64 s[20:21], s[20:21], s[14:15]
	v_add_nc_u64_e32 v[0:1], v[4:5], v[8:9]
	s_cvt_f32_u32 s2, s20
	s_cvt_f32_u32 s15, s21
	s_sub_nc_u64 s[24:25], 0, s[20:21]
	v_dual_mov_b32 v7, v3 :: v_dual_mov_b32 v15, v3
	s_delay_alu instid0(SALU_CYCLE_1) | instskip(NEXT) | instid1(VALU_DEP_2)
	s_fmamk_f32 s2, s15, 0x4f800000, s2
	v_xor_b32_e32 v2, v0, v8
	v_xor_b32_e32 v6, v1, v8
	s_delay_alu instid0(SALU_CYCLE_1) | instskip(NEXT) | instid1(TRANS32_DEP_1)
	v_s_rcp_f32 s2, s2
	s_mul_f32 s2, s2, 0x5f7ffffc
	s_delay_alu instid0(SALU_CYCLE_3) | instskip(NEXT) | instid1(SALU_CYCLE_3)
	s_mul_f32 s15, s2, 0x2f800000
	s_trunc_f32 s15, s15
	s_delay_alu instid0(SALU_CYCLE_3) | instskip(SKIP_1) | instid1(SALU_CYCLE_2)
	s_fmamk_f32 s2, s15, 0xcf800000, s2
	s_cvt_u32_f32 s23, s15
	s_cvt_u32_f32 s22, s2
	s_delay_alu instid0(SALU_CYCLE_3) | instskip(NEXT) | instid1(SALU_CYCLE_1)
	s_mul_u64 s[26:27], s[24:25], s[22:23]
	s_mul_hi_u32 s31, s22, s27
	s_mul_i32 s30, s22, s27
	s_mul_hi_u32 s28, s22, s26
	s_mul_i32 s15, s23, s26
	s_add_nc_u64 s[30:31], s[28:29], s[30:31]
	s_mul_hi_u32 s2, s23, s26
	s_mul_hi_u32 s33, s23, s27
	s_add_co_u32 s15, s30, s15
	s_add_co_ci_u32 s28, s31, s2
	s_mul_i32 s26, s23, s27
	s_add_co_ci_u32 s27, s33, 0
	s_delay_alu instid0(SALU_CYCLE_1) | instskip(NEXT) | instid1(SALU_CYCLE_1)
	s_add_nc_u64 s[26:27], s[28:29], s[26:27]
	s_add_co_u32 s22, s22, s26
	s_cselect_b32 s2, -1, 0
	s_delay_alu instid0(SALU_CYCLE_1) | instskip(SKIP_1) | instid1(SALU_CYCLE_1)
	s_cmp_lg_u32 s2, 0
	s_add_co_ci_u32 s23, s23, s27
	s_mul_u64 s[24:25], s[24:25], s[22:23]
	s_delay_alu instid0(SALU_CYCLE_1)
	s_mul_hi_u32 s27, s22, s25
	s_mul_i32 s26, s22, s25
	s_mul_hi_u32 s28, s22, s24
	s_mul_i32 s15, s23, s24
	s_add_nc_u64 s[26:27], s[28:29], s[26:27]
	s_mul_hi_u32 s2, s23, s24
	s_mul_hi_u32 s30, s23, s25
	s_add_co_u32 s15, s26, s15
	s_add_co_ci_u32 s28, s27, s2
	s_mul_i32 s24, s23, s25
	s_add_co_ci_u32 s25, s30, 0
	s_delay_alu instid0(SALU_CYCLE_1) | instskip(NEXT) | instid1(SALU_CYCLE_1)
	s_add_nc_u64 s[24:25], s[28:29], s[24:25]
	s_add_co_u32 s2, s22, s24
	s_cselect_b32 s15, -1, 0
	v_nop
	v_mul_hi_u32 v14, v2, s2
	s_cmp_lg_u32 s15, 0
	s_add_co_ci_u32 s28, s23, s25
	s_mov_b64 s[22:23], 0xffffffff
	v_mul_u64_e32 v[10:11], s[28:29], v[2:3]
	s_and_b64 s[22:23], s[2:3], s[22:23]
	v_mul_u64_e32 v[12:13], s[28:29], v[6:7]
	v_mul_u64_e32 v[0:1], s[22:23], v[6:7]
	s_delay_alu instid0(VALU_DEP_3) | instskip(NEXT) | instid1(VALU_DEP_1)
	v_add_nc_u64_e32 v[10:11], v[14:15], v[10:11]
	v_add_co_u32 v0, vcc_lo, v10, v0
	s_delay_alu instid0(VALU_DEP_2) | instskip(SKIP_1) | instid1(VALU_DEP_1)
	v_add_co_ci_u32_e32 v14, vcc_lo, v11, v1, vcc_lo
	v_add_co_ci_u32_e32 v13, vcc_lo, 0, v13, vcc_lo
	v_add_nc_u64_e32 v[0:1], v[14:15], v[12:13]
	s_delay_alu instid0(VALU_DEP_1) | instskip(NEXT) | instid1(VALU_DEP_1)
	v_mul_u64_e32 v[10:11], s[20:21], v[0:1]
	v_sub_nc_u32_e32 v3, v6, v11
	s_delay_alu instid0(VALU_DEP_2) | instskip(NEXT) | instid1(VALU_DEP_1)
	v_sub_co_u32 v2, vcc_lo, v2, v10
	v_sub_co_ci_u32_e64 v9, null, v6, v11, vcc_lo
	s_delay_alu instid0(VALU_DEP_3) | instskip(NEXT) | instid1(VALU_DEP_3)
	v_subrev_co_ci_u32_e64 v3, null, s21, v3, vcc_lo
	v_sub_co_u32 v7, s2, v2, s20
	s_delay_alu instid0(VALU_DEP_1) | instskip(NEXT) | instid1(VALU_DEP_2)
	v_subrev_co_ci_u32_e64 v3, null, 0, v3, s2
	v_cmp_le_u32_e32 vcc_lo, s20, v7
	v_cndmask_b32_e64 v6, 0, -1, vcc_lo
	s_delay_alu instid0(VALU_DEP_3)
	v_cmp_le_u32_e32 vcc_lo, s21, v3
	v_cndmask_b32_e64 v7, 0, -1, vcc_lo
	v_cmp_le_u32_e32 vcc_lo, s20, v2
	v_cndmask_b32_e64 v10, 0, -1, vcc_lo
	;; [unrolled: 2-line block ×3, first 2 shown]
	v_cmp_eq_u32_e32 vcc_lo, s21, v3
	v_add_nc_u64_e32 v[2:3], 2, v[0:1]
	v_cndmask_b32_e32 v12, v7, v6, vcc_lo
	v_cmp_eq_u32_e32 vcc_lo, s21, v9
	v_add_nc_u64_e32 v[6:7], 1, v[0:1]
	v_cndmask_b32_e32 v9, v11, v10, vcc_lo
	s_delay_alu instid0(VALU_DEP_4) | instskip(NEXT) | instid1(VALU_DEP_3)
	v_cmp_ne_u32_e32 vcc_lo, 0, v12
	v_dual_cndmask_b32 v3, v7, v3 :: v_dual_cndmask_b32 v6, v6, v2
	v_xor_b32_e32 v2, s14, v8
	s_delay_alu instid0(VALU_DEP_4) | instskip(NEXT) | instid1(VALU_DEP_1)
	v_cmp_ne_u32_e64 s2, 0, v9
	v_dual_cndmask_b32 v1, v1, v3, s2 :: v_dual_cndmask_b32 v0, v0, v6, s2
	s_delay_alu instid0(VALU_DEP_1) | instskip(NEXT) | instid1(VALU_DEP_2)
	v_dual_mov_b32 v3, v2 :: v_dual_bitop2_b32 v1, v1, v2 bitop3:0x14
	v_xor_b32_e32 v0, v0, v2
	s_delay_alu instid0(VALU_DEP_1)
	v_sub_nc_u64_e32 v[0:1], v[0:1], v[2:3]
.LBB1_3:
	s_and_not1_saveexec_b32 s2, s3
	s_cbranch_execz .LBB1_5
; %bb.4:
	v_cvt_f32_u32_e32 v0, s12
	s_sub_co_i32 s3, 0, s12
	s_delay_alu instid0(VALU_DEP_1) | instskip(SKIP_1) | instid1(TRANS32_DEP_1)
	v_rcp_iflag_f32_e32 v0, v0
	v_nop
	v_mul_f32_e32 v0, 0x4f7ffffe, v0
	s_delay_alu instid0(VALU_DEP_1) | instskip(NEXT) | instid1(VALU_DEP_1)
	v_cvt_u32_f32_e32 v0, v0
	v_mul_lo_u32 v1, s3, v0
	s_delay_alu instid0(VALU_DEP_1) | instskip(NEXT) | instid1(VALU_DEP_1)
	v_mul_hi_u32 v1, v0, v1
	v_add_nc_u32_e32 v0, v0, v1
	s_delay_alu instid0(VALU_DEP_1) | instskip(NEXT) | instid1(VALU_DEP_1)
	v_mul_hi_u32 v0, v4, v0
	v_mul_lo_u32 v1, v0, s12
	s_delay_alu instid0(VALU_DEP_1) | instskip(NEXT) | instid1(VALU_DEP_1)
	v_dual_add_nc_u32 v2, 1, v0 :: v_dual_sub_nc_u32 v1, v4, v1
	v_subrev_nc_u32_e32 v3, s12, v1
	v_cmp_le_u32_e32 vcc_lo, s12, v1
	s_delay_alu instid0(VALU_DEP_2) | instskip(NEXT) | instid1(VALU_DEP_1)
	v_dual_cndmask_b32 v1, v1, v3 :: v_dual_cndmask_b32 v0, v0, v2
	v_cmp_le_u32_e32 vcc_lo, s12, v1
	s_delay_alu instid0(VALU_DEP_2) | instskip(NEXT) | instid1(VALU_DEP_1)
	v_dual_mov_b32 v1, 0 :: v_dual_add_nc_u32 v2, 1, v0
	v_cndmask_b32_e32 v0, v0, v2, vcc_lo
.LBB1_5:
	s_or_b32 exec_lo, exec_lo, s2
	s_delay_alu instid0(VALU_DEP_1) | instskip(SKIP_2) | instid1(VALU_DEP_2)
	v_mul_u64_e32 v[2:3], s[12:13], v[0:1]
	s_mov_b32 s2, exec_lo
	v_mov_b32_e32 v10, 0
	v_sub_nc_u64_e32 v[6:7], v[4:5], v[2:3]
                                        ; implicit-def: $vgpr2_vgpr3
	s_delay_alu instid0(VALU_DEP_1) | instskip(NEXT) | instid1(VALU_DEP_1)
	v_or_b32_e32 v11, s9, v7
	v_cmpx_ne_u64_e32 0, v[10:11]
	s_xor_b32 s3, exec_lo, s2
	s_cbranch_execz .LBB1_7
; %bb.6:
	s_ashr_i32 s12, s9, 31
	s_mov_b32 s27, 0
	s_mov_b32 s13, s12
	v_dual_mov_b32 v15, v10 :: v_dual_ashrrev_i32 v2, 31, v7
	s_add_nc_u64 s[14:15], s[8:9], s[12:13]
	v_dual_mov_b32 v23, v10 :: v_dual_mov_b32 v11, v10
	s_xor_b64 s[14:15], s[14:15], s[12:13]
	s_delay_alu instid0(VALU_DEP_2) | instskip(SKIP_3) | instid1(VALU_DEP_1)
	v_mov_b32_e32 v3, v2
	s_cvt_f32_u32 s2, s14
	s_cvt_f32_u32 s13, s15
	s_sub_nc_u64 s[22:23], 0, s[14:15]
	v_add_nc_u64_e32 v[12:13], v[6:7], v[2:3]
	s_delay_alu instid0(SALU_CYCLE_1) | instskip(SKIP_1) | instid1(SALU_CYCLE_2)
	s_fmamk_f32 s2, s13, 0x4f800000, s2
	v_mov_b32_e32 v17, v10
	v_s_rcp_f32 s2, s2
	s_delay_alu instid0(VALU_DEP_2) | instskip(NEXT) | instid1(VALU_DEP_3)
	v_xor_b32_e32 v14, v12, v2
	v_xor_b32_e32 v16, v13, v2
	;; [unrolled: 1-line block ×3, first 2 shown]
	s_delay_alu instid0(TRANS32_DEP_1) | instskip(NEXT) | instid1(SALU_CYCLE_3)
	s_mul_f32 s2, s2, 0x5f7ffffc
	s_mul_f32 s13, s2, 0x2f800000
	s_delay_alu instid0(SALU_CYCLE_3) | instskip(NEXT) | instid1(SALU_CYCLE_3)
	s_trunc_f32 s13, s13
	s_fmamk_f32 s2, s13, 0xcf800000, s2
	s_cvt_u32_f32 s21, s13
	s_delay_alu instid0(SALU_CYCLE_2) | instskip(NEXT) | instid1(SALU_CYCLE_3)
	s_cvt_u32_f32 s20, s2
	s_mul_u64 s[24:25], s[22:23], s[20:21]
	s_delay_alu instid0(SALU_CYCLE_1)
	s_mul_hi_u32 s29, s20, s25
	s_mul_i32 s28, s20, s25
	s_mul_hi_u32 s26, s20, s24
	s_mul_i32 s13, s21, s24
	s_add_nc_u64 s[28:29], s[26:27], s[28:29]
	s_mul_hi_u32 s2, s21, s24
	s_mul_hi_u32 s30, s21, s25
	s_add_co_u32 s13, s28, s13
	s_add_co_ci_u32 s26, s29, s2
	s_mul_i32 s24, s21, s25
	s_add_co_ci_u32 s25, s30, 0
	s_delay_alu instid0(SALU_CYCLE_1) | instskip(NEXT) | instid1(SALU_CYCLE_1)
	s_add_nc_u64 s[24:25], s[26:27], s[24:25]
	s_add_co_u32 s20, s20, s24
	s_cselect_b32 s2, -1, 0
	s_delay_alu instid0(SALU_CYCLE_1) | instskip(SKIP_1) | instid1(SALU_CYCLE_1)
	s_cmp_lg_u32 s2, 0
	s_add_co_ci_u32 s21, s21, s25
	s_mul_u64 s[22:23], s[22:23], s[20:21]
	s_delay_alu instid0(SALU_CYCLE_1)
	s_mul_hi_u32 s25, s20, s23
	s_mul_i32 s24, s20, s23
	s_mul_hi_u32 s26, s20, s22
	s_mul_i32 s13, s21, s22
	s_add_nc_u64 s[24:25], s[26:27], s[24:25]
	s_mul_hi_u32 s2, s21, s22
	s_mul_hi_u32 s28, s21, s23
	s_add_co_u32 s13, s24, s13
	s_add_co_ci_u32 s26, s25, s2
	s_mul_i32 s22, s21, s23
	s_add_co_ci_u32 s23, s28, 0
	s_delay_alu instid0(SALU_CYCLE_1) | instskip(NEXT) | instid1(SALU_CYCLE_1)
	s_add_nc_u64 s[22:23], s[26:27], s[22:23]
	s_add_co_u32 s2, s20, s22
	s_cselect_b32 s13, -1, 0
	v_mul_hi_u32 v22, v14, s2
	s_cmp_lg_u32 s13, 0
	s_add_co_ci_u32 s26, s21, s23
	s_mov_b64 s[20:21], 0xffffffff
	v_mul_u64_e32 v[18:19], s[26:27], v[14:15]
	s_and_b64 s[20:21], s[2:3], s[20:21]
	v_mul_u64_e32 v[20:21], s[26:27], v[16:17]
	v_mul_u64_e32 v[12:13], s[20:21], v[16:17]
	s_delay_alu instid0(VALU_DEP_3) | instskip(NEXT) | instid1(VALU_DEP_1)
	v_add_nc_u64_e32 v[18:19], v[22:23], v[18:19]
	v_add_co_u32 v3, vcc_lo, v18, v12
	s_delay_alu instid0(VALU_DEP_2) | instskip(SKIP_1) | instid1(VALU_DEP_1)
	v_add_co_ci_u32_e32 v10, vcc_lo, v19, v13, vcc_lo
	v_add_co_ci_u32_e32 v21, vcc_lo, 0, v21, vcc_lo
	v_add_nc_u64_e32 v[10:11], v[10:11], v[20:21]
	s_delay_alu instid0(VALU_DEP_1) | instskip(NEXT) | instid1(VALU_DEP_1)
	v_mul_u64_e32 v[12:13], s[14:15], v[10:11]
	v_sub_co_u32 v9, vcc_lo, v14, v12
	v_add_nc_u64_e32 v[14:15], 1, v[10:11]
	s_delay_alu instid0(VALU_DEP_3) | instskip(SKIP_1) | instid1(VALU_DEP_4)
	v_sub_nc_u32_e32 v3, v16, v13
	v_sub_co_ci_u32_e64 v16, null, v16, v13, vcc_lo
	v_sub_co_u32 v12, s2, v9, s14
	s_delay_alu instid0(VALU_DEP_3) | instskip(NEXT) | instid1(VALU_DEP_2)
	v_subrev_co_ci_u32_e64 v3, null, s15, v3, vcc_lo
	v_cmp_le_u32_e32 vcc_lo, s14, v12
	s_delay_alu instid0(VALU_DEP_2) | instskip(SKIP_1) | instid1(VALU_DEP_2)
	v_subrev_co_ci_u32_e64 v3, null, 0, v3, s2
	v_cndmask_b32_e64 v12, 0, -1, vcc_lo
	v_cmp_le_u32_e32 vcc_lo, s15, v3
	v_cndmask_b32_e64 v13, 0, -1, vcc_lo
	v_cmp_le_u32_e32 vcc_lo, s14, v9
	v_cndmask_b32_e64 v9, 0, -1, vcc_lo
	v_cmp_le_u32_e32 vcc_lo, s15, v16
	v_cndmask_b32_e64 v17, 0, -1, vcc_lo
	v_cmp_eq_u32_e32 vcc_lo, s15, v3
	v_cndmask_b32_e32 v3, v13, v12, vcc_lo
	v_cmp_eq_u32_e32 vcc_lo, s15, v16
	v_add_nc_u64_e32 v[12:13], 2, v[10:11]
	v_cndmask_b32_e32 v9, v17, v9, vcc_lo
	s_delay_alu instid0(VALU_DEP_4) | instskip(NEXT) | instid1(VALU_DEP_2)
	v_cmp_ne_u32_e32 vcc_lo, 0, v3
	v_cmp_ne_u32_e64 s2, 0, v9
	s_delay_alu instid0(VALU_DEP_4) | instskip(NEXT) | instid1(VALU_DEP_1)
	v_cndmask_b32_e32 v9, v14, v12, vcc_lo
	v_cndmask_b32_e64 v9, v10, v9, s2
	s_delay_alu instid0(VALU_DEP_1) | instskip(NEXT) | instid1(VALU_DEP_1)
	v_dual_cndmask_b32 v3, v15, v13, vcc_lo :: v_dual_bitop2_b32 v10, v9, v2 bitop3:0x14
	v_dual_cndmask_b32 v11, v11, v3, s2 :: v_dual_mov_b32 v3, v2
	s_delay_alu instid0(VALU_DEP_1) | instskip(NEXT) | instid1(VALU_DEP_1)
	v_xor_b32_e32 v11, v11, v2
	v_sub_nc_u64_e32 v[2:3], v[10:11], v[2:3]
.LBB1_7:
	s_and_not1_saveexec_b32 s2, s3
	s_cbranch_execz .LBB1_9
; %bb.8:
	v_cvt_f32_u32_e32 v2, s8
	s_sub_co_i32 s3, 0, s8
	s_delay_alu instid0(VALU_DEP_1) | instskip(SKIP_1) | instid1(TRANS32_DEP_1)
	v_rcp_iflag_f32_e32 v2, v2
	v_nop
	v_mul_f32_e32 v2, 0x4f7ffffe, v2
	s_delay_alu instid0(VALU_DEP_1) | instskip(NEXT) | instid1(VALU_DEP_1)
	v_cvt_u32_f32_e32 v2, v2
	v_mul_lo_u32 v3, s3, v2
	s_delay_alu instid0(VALU_DEP_1) | instskip(NEXT) | instid1(VALU_DEP_1)
	v_mul_hi_u32 v3, v2, v3
	v_add_nc_u32_e32 v2, v2, v3
	s_delay_alu instid0(VALU_DEP_1) | instskip(NEXT) | instid1(VALU_DEP_1)
	v_mul_hi_u32 v2, v6, v2
	v_mul_lo_u32 v3, v2, s8
	s_delay_alu instid0(VALU_DEP_1) | instskip(NEXT) | instid1(VALU_DEP_1)
	v_dual_add_nc_u32 v9, 1, v2 :: v_dual_sub_nc_u32 v3, v6, v3
	v_subrev_nc_u32_e32 v10, s8, v3
	v_cmp_le_u32_e32 vcc_lo, s8, v3
	s_delay_alu instid0(VALU_DEP_2) | instskip(NEXT) | instid1(VALU_DEP_1)
	v_dual_cndmask_b32 v3, v3, v10 :: v_dual_cndmask_b32 v2, v2, v9
	v_cmp_le_u32_e32 vcc_lo, s8, v3
	s_delay_alu instid0(VALU_DEP_2) | instskip(NEXT) | instid1(VALU_DEP_1)
	v_dual_add_nc_u32 v9, 1, v2 :: v_dual_mov_b32 v3, 0
	v_cndmask_b32_e32 v2, v2, v9, vcc_lo
.LBB1_9:
	s_or_b32 exec_lo, exec_lo, s2
	s_delay_alu instid0(VALU_DEP_1) | instskip(SKIP_2) | instid1(VALU_DEP_2)
	v_mul_u64_e32 v[10:11], s[8:9], v[2:3]
	s_mov_b32 s2, exec_lo
	v_mov_b32_e32 v12, 0
	v_sub_nc_u64_e32 v[6:7], v[6:7], v[10:11]
                                        ; implicit-def: $vgpr10_vgpr11
	s_delay_alu instid0(VALU_DEP_1) | instskip(NEXT) | instid1(VALU_DEP_1)
	v_or_b32_e32 v13, s11, v7
	v_cmpx_ne_u64_e32 0, v[12:13]
	s_xor_b32 s3, exec_lo, s2
	s_cbranch_execz .LBB1_11
; %bb.10:
	s_ashr_i32 s8, s11, 31
	s_mov_b32 s25, 0
	s_mov_b32 s9, s8
	v_dual_mov_b32 v17, v12 :: v_dual_ashrrev_i32 v10, 31, v7
	s_add_nc_u64 s[12:13], s[10:11], s[8:9]
	v_mov_b32_e32 v19, v12
	s_xor_b64 s[12:13], s[12:13], s[8:9]
	s_delay_alu instid0(VALU_DEP_2)
	v_mov_b32_e32 v11, v10
	s_cvt_f32_u32 s2, s12
	s_cvt_f32_u32 s9, s13
	s_sub_nc_u64 s[20:21], 0, s[12:13]
	v_mov_b32_e32 v25, v12
	v_add_nc_u64_e32 v[14:15], v[6:7], v[10:11]
	s_fmamk_f32 s2, s9, 0x4f800000, s2
	v_mov_b32_e32 v13, v12
	s_delay_alu instid0(SALU_CYCLE_2) | instskip(NEXT) | instid1(VALU_DEP_2)
	v_s_rcp_f32 s2, s2
	v_xor_b32_e32 v16, v14, v10
	s_delay_alu instid0(VALU_DEP_3) | instskip(SKIP_1) | instid1(TRANS32_DEP_1)
	v_xor_b32_e32 v18, v15, v10
	v_xor_b32_e32 v10, s8, v10
	s_mul_f32 s2, s2, 0x5f7ffffc
	s_delay_alu instid0(SALU_CYCLE_3) | instskip(NEXT) | instid1(SALU_CYCLE_3)
	s_mul_f32 s9, s2, 0x2f800000
	s_trunc_f32 s9, s9
	s_delay_alu instid0(SALU_CYCLE_3) | instskip(SKIP_1) | instid1(SALU_CYCLE_2)
	s_fmamk_f32 s2, s9, 0xcf800000, s2
	s_cvt_u32_f32 s15, s9
	s_cvt_u32_f32 s14, s2
	s_delay_alu instid0(SALU_CYCLE_3) | instskip(NEXT) | instid1(SALU_CYCLE_1)
	s_mul_u64 s[22:23], s[20:21], s[14:15]
	s_mul_hi_u32 s27, s14, s23
	s_mul_i32 s26, s14, s23
	s_mul_hi_u32 s24, s14, s22
	s_mul_i32 s9, s15, s22
	s_add_nc_u64 s[26:27], s[24:25], s[26:27]
	s_mul_hi_u32 s2, s15, s22
	s_mul_hi_u32 s28, s15, s23
	s_add_co_u32 s9, s26, s9
	s_add_co_ci_u32 s24, s27, s2
	s_mul_i32 s22, s15, s23
	s_add_co_ci_u32 s23, s28, 0
	s_delay_alu instid0(SALU_CYCLE_1) | instskip(NEXT) | instid1(SALU_CYCLE_1)
	s_add_nc_u64 s[22:23], s[24:25], s[22:23]
	s_add_co_u32 s14, s14, s22
	s_cselect_b32 s2, -1, 0
	s_delay_alu instid0(SALU_CYCLE_1) | instskip(SKIP_1) | instid1(SALU_CYCLE_1)
	s_cmp_lg_u32 s2, 0
	s_add_co_ci_u32 s15, s15, s23
	s_mul_u64 s[20:21], s[20:21], s[14:15]
	s_delay_alu instid0(SALU_CYCLE_1)
	s_mul_hi_u32 s23, s14, s21
	s_mul_i32 s22, s14, s21
	s_mul_hi_u32 s24, s14, s20
	s_mul_i32 s9, s15, s20
	s_add_nc_u64 s[22:23], s[24:25], s[22:23]
	s_mul_hi_u32 s2, s15, s20
	s_mul_hi_u32 s26, s15, s21
	s_add_co_u32 s9, s22, s9
	s_add_co_ci_u32 s24, s23, s2
	s_mul_i32 s20, s15, s21
	s_add_co_ci_u32 s21, s26, 0
	s_delay_alu instid0(SALU_CYCLE_1) | instskip(NEXT) | instid1(SALU_CYCLE_1)
	s_add_nc_u64 s[20:21], s[24:25], s[20:21]
	s_add_co_u32 s2, s14, s20
	s_cselect_b32 s9, -1, 0
	v_mul_hi_u32 v24, v16, s2
	s_cmp_lg_u32 s9, 0
	s_add_co_ci_u32 s24, s15, s21
	s_mov_b64 s[14:15], 0xffffffff
	v_mul_u64_e32 v[20:21], s[24:25], v[16:17]
	s_and_b64 s[14:15], s[2:3], s[14:15]
	v_mul_u64_e32 v[22:23], s[24:25], v[18:19]
	v_mul_u64_e32 v[14:15], s[14:15], v[18:19]
	s_delay_alu instid0(VALU_DEP_3) | instskip(NEXT) | instid1(VALU_DEP_1)
	v_add_nc_u64_e32 v[20:21], v[24:25], v[20:21]
	v_add_co_u32 v9, vcc_lo, v20, v14
	s_delay_alu instid0(VALU_DEP_2) | instskip(SKIP_1) | instid1(VALU_DEP_1)
	v_add_co_ci_u32_e32 v12, vcc_lo, v21, v15, vcc_lo
	v_add_co_ci_u32_e32 v23, vcc_lo, 0, v23, vcc_lo
	v_add_nc_u64_e32 v[12:13], v[12:13], v[22:23]
	s_delay_alu instid0(VALU_DEP_1) | instskip(NEXT) | instid1(VALU_DEP_1)
	v_mul_u64_e32 v[14:15], s[12:13], v[12:13]
	v_sub_co_u32 v11, vcc_lo, v16, v14
	v_add_nc_u64_e32 v[16:17], 1, v[12:13]
	s_delay_alu instid0(VALU_DEP_3) | instskip(SKIP_1) | instid1(VALU_DEP_4)
	v_sub_nc_u32_e32 v9, v18, v15
	v_sub_co_ci_u32_e64 v18, null, v18, v15, vcc_lo
	v_sub_co_u32 v14, s2, v11, s12
	s_delay_alu instid0(VALU_DEP_3) | instskip(NEXT) | instid1(VALU_DEP_2)
	v_subrev_co_ci_u32_e64 v9, null, s13, v9, vcc_lo
	v_cmp_le_u32_e32 vcc_lo, s12, v14
	s_delay_alu instid0(VALU_DEP_2) | instskip(SKIP_1) | instid1(VALU_DEP_2)
	v_subrev_co_ci_u32_e64 v9, null, 0, v9, s2
	v_cndmask_b32_e64 v14, 0, -1, vcc_lo
	v_cmp_le_u32_e32 vcc_lo, s13, v9
	v_cndmask_b32_e64 v15, 0, -1, vcc_lo
	v_cmp_le_u32_e32 vcc_lo, s12, v11
	;; [unrolled: 2-line block ×3, first 2 shown]
	v_cndmask_b32_e64 v19, 0, -1, vcc_lo
	v_cmp_eq_u32_e32 vcc_lo, s13, v9
	v_cndmask_b32_e32 v9, v15, v14, vcc_lo
	v_cmp_eq_u32_e32 vcc_lo, s13, v18
	v_add_nc_u64_e32 v[14:15], 2, v[12:13]
	v_cndmask_b32_e32 v11, v19, v11, vcc_lo
	s_delay_alu instid0(VALU_DEP_4) | instskip(NEXT) | instid1(VALU_DEP_2)
	v_cmp_ne_u32_e32 vcc_lo, 0, v9
	v_cmp_ne_u32_e64 s2, 0, v11
	s_delay_alu instid0(VALU_DEP_4) | instskip(NEXT) | instid1(VALU_DEP_1)
	v_dual_cndmask_b32 v9, v17, v15, vcc_lo :: v_dual_cndmask_b32 v11, v16, v14, vcc_lo
	v_dual_cndmask_b32 v12, v12, v11, s2 :: v_dual_mov_b32 v11, v10
	s_delay_alu instid0(VALU_DEP_1) | instskip(NEXT) | instid1(VALU_DEP_1)
	v_dual_cndmask_b32 v9, v13, v9, s2 :: v_dual_bitop2_b32 v12, v12, v10 bitop3:0x14
	v_xor_b32_e32 v13, v9, v10
	s_delay_alu instid0(VALU_DEP_1)
	v_sub_nc_u64_e32 v[10:11], v[12:13], v[10:11]
.LBB1_11:
	s_and_not1_saveexec_b32 s2, s3
	s_cbranch_execz .LBB1_13
; %bb.12:
	v_cvt_f32_u32_e32 v9, s10
	s_sub_co_i32 s3, 0, s10
	s_delay_alu instid0(VALU_DEP_1) | instskip(SKIP_1) | instid1(TRANS32_DEP_1)
	v_rcp_iflag_f32_e32 v9, v9
	v_nop
	v_mul_f32_e32 v9, 0x4f7ffffe, v9
	s_delay_alu instid0(VALU_DEP_1) | instskip(NEXT) | instid1(VALU_DEP_1)
	v_cvt_u32_f32_e32 v9, v9
	v_mul_lo_u32 v10, s3, v9
	s_delay_alu instid0(VALU_DEP_1) | instskip(NEXT) | instid1(VALU_DEP_1)
	v_mul_hi_u32 v10, v9, v10
	v_add_nc_u32_e32 v9, v9, v10
	s_delay_alu instid0(VALU_DEP_1) | instskip(NEXT) | instid1(VALU_DEP_1)
	v_mul_hi_u32 v9, v6, v9
	v_mul_lo_u32 v10, v9, s10
	s_delay_alu instid0(VALU_DEP_1) | instskip(NEXT) | instid1(VALU_DEP_1)
	v_dual_add_nc_u32 v11, 1, v9 :: v_dual_sub_nc_u32 v10, v6, v10
	v_subrev_nc_u32_e32 v12, s10, v10
	v_cmp_le_u32_e32 vcc_lo, s10, v10
	s_delay_alu instid0(VALU_DEP_2) | instskip(NEXT) | instid1(VALU_DEP_1)
	v_dual_cndmask_b32 v10, v10, v12 :: v_dual_cndmask_b32 v9, v9, v11
	v_cmp_le_u32_e32 vcc_lo, s10, v10
	s_delay_alu instid0(VALU_DEP_2) | instskip(NEXT) | instid1(VALU_DEP_1)
	v_add_nc_u32_e32 v11, 1, v9
	v_dual_cndmask_b32 v10, v9, v11 :: v_dual_mov_b32 v11, 0
.LBB1_13:
	s_or_b32 exec_lo, exec_lo, s2
	s_load_b512 s[36:51], s[0:1], 0x40
                                        ; implicit-def: $vgpr12_vgpr13
	s_mov_b32 s2, exec_lo
	v_mov_b32_e32 v14, 0
	s_wait_kmcnt 0x0
	s_mul_u64 s[8:9], s[42:43], s[40:41]
	s_delay_alu instid0(SALU_CYCLE_1) | instskip(NEXT) | instid1(SALU_CYCLE_1)
	s_mul_u64 s[12:13], s[8:9], s[44:45]
	v_or_b32_e32 v15, s13, v5
	s_delay_alu instid0(VALU_DEP_1)
	v_cmpx_ne_u64_e32 0, v[14:15]
	s_xor_b32 s3, exec_lo, s2
	s_cbranch_execz .LBB1_15
; %bb.14:
	s_ashr_i32 s14, s13, 31
	s_mov_b32 s29, 0
	s_mov_b32 s15, s14
	v_dual_mov_b32 v9, v8 :: v_dual_mov_b32 v17, v14
	s_add_nc_u64 s[20:21], s[12:13], s[14:15]
	v_mov_b32_e32 v15, v14
	s_xor_b64 s[20:21], s[20:21], s[14:15]
	s_delay_alu instid0(VALU_DEP_2) | instskip(SKIP_4) | instid1(SALU_CYCLE_1)
	v_add_nc_u64_e32 v[12:13], v[4:5], v[8:9]
	s_cvt_f32_u32 s2, s20
	s_cvt_f32_u32 s15, s21
	s_sub_nc_u64 s[24:25], 0, s[20:21]
	v_dual_mov_b32 v19, v14 :: v_dual_mov_b32 v25, v14
	s_fmamk_f32 s2, s15, 0x4f800000, s2
	s_delay_alu instid0(VALU_DEP_2) | instskip(SKIP_3) | instid1(TRANS32_DEP_1)
	v_xor_b32_e32 v16, v12, v8
	v_xor_b32_e32 v18, v13, v8
	;; [unrolled: 1-line block ×3, first 2 shown]
	v_s_rcp_f32 s2, s2
	s_mul_f32 s2, s2, 0x5f7ffffc
	s_delay_alu instid0(SALU_CYCLE_3) | instskip(NEXT) | instid1(SALU_CYCLE_3)
	s_mul_f32 s15, s2, 0x2f800000
	s_trunc_f32 s15, s15
	s_delay_alu instid0(SALU_CYCLE_3) | instskip(SKIP_1) | instid1(SALU_CYCLE_2)
	s_fmamk_f32 s2, s15, 0xcf800000, s2
	s_cvt_u32_f32 s23, s15
	s_cvt_u32_f32 s22, s2
	s_delay_alu instid0(SALU_CYCLE_3) | instskip(NEXT) | instid1(SALU_CYCLE_1)
	s_mul_u64 s[26:27], s[24:25], s[22:23]
	s_mul_hi_u32 s31, s22, s27
	s_mul_i32 s30, s22, s27
	s_mul_hi_u32 s28, s22, s26
	s_mul_i32 s15, s23, s26
	s_add_nc_u64 s[30:31], s[28:29], s[30:31]
	s_mul_hi_u32 s2, s23, s26
	s_mul_hi_u32 s33, s23, s27
	s_add_co_u32 s15, s30, s15
	s_add_co_ci_u32 s28, s31, s2
	s_mul_i32 s26, s23, s27
	s_add_co_ci_u32 s27, s33, 0
	s_delay_alu instid0(SALU_CYCLE_1) | instskip(NEXT) | instid1(SALU_CYCLE_1)
	s_add_nc_u64 s[26:27], s[28:29], s[26:27]
	s_add_co_u32 s22, s22, s26
	s_cselect_b32 s2, -1, 0
	s_delay_alu instid0(SALU_CYCLE_1) | instskip(SKIP_1) | instid1(SALU_CYCLE_1)
	s_cmp_lg_u32 s2, 0
	s_add_co_ci_u32 s23, s23, s27
	s_mul_u64 s[24:25], s[24:25], s[22:23]
	s_delay_alu instid0(SALU_CYCLE_1)
	s_mul_hi_u32 s27, s22, s25
	s_mul_i32 s26, s22, s25
	s_mul_hi_u32 s28, s22, s24
	s_mul_i32 s15, s23, s24
	s_add_nc_u64 s[26:27], s[28:29], s[26:27]
	s_mul_hi_u32 s2, s23, s24
	s_mul_hi_u32 s30, s23, s25
	s_add_co_u32 s15, s26, s15
	s_add_co_ci_u32 s28, s27, s2
	s_mul_i32 s24, s23, s25
	s_add_co_ci_u32 s25, s30, 0
	s_delay_alu instid0(SALU_CYCLE_1) | instskip(NEXT) | instid1(SALU_CYCLE_1)
	s_add_nc_u64 s[24:25], s[28:29], s[24:25]
	s_add_co_u32 s2, s22, s24
	s_cselect_b32 s15, -1, 0
	v_nop
	v_mul_hi_u32 v24, v16, s2
	s_cmp_lg_u32 s15, 0
	s_add_co_ci_u32 s28, s23, s25
	s_mov_b64 s[22:23], 0xffffffff
	v_mul_u64_e32 v[20:21], s[28:29], v[16:17]
	s_and_b64 s[22:23], s[2:3], s[22:23]
	v_mul_u64_e32 v[22:23], s[28:29], v[18:19]
	v_mul_u64_e32 v[12:13], s[22:23], v[18:19]
	s_delay_alu instid0(VALU_DEP_3) | instskip(NEXT) | instid1(VALU_DEP_1)
	v_add_nc_u64_e32 v[20:21], v[24:25], v[20:21]
	v_add_co_u32 v9, vcc_lo, v20, v12
	s_delay_alu instid0(VALU_DEP_2) | instskip(SKIP_1) | instid1(VALU_DEP_1)
	v_add_co_ci_u32_e32 v14, vcc_lo, v21, v13, vcc_lo
	v_add_co_ci_u32_e32 v23, vcc_lo, 0, v23, vcc_lo
	v_add_nc_u64_e32 v[12:13], v[14:15], v[22:23]
	s_delay_alu instid0(VALU_DEP_1) | instskip(NEXT) | instid1(VALU_DEP_1)
	v_mul_u64_e32 v[14:15], s[20:21], v[12:13]
	v_sub_nc_u32_e32 v9, v18, v15
	s_delay_alu instid0(VALU_DEP_2) | instskip(NEXT) | instid1(VALU_DEP_1)
	v_sub_co_u32 v14, vcc_lo, v16, v14
	v_sub_co_ci_u32_e64 v18, null, v18, v15, vcc_lo
	s_delay_alu instid0(VALU_DEP_3) | instskip(NEXT) | instid1(VALU_DEP_3)
	v_subrev_co_ci_u32_e64 v9, null, s21, v9, vcc_lo
	v_sub_co_u32 v16, s2, v14, s20
	s_delay_alu instid0(VALU_DEP_1) | instskip(NEXT) | instid1(VALU_DEP_2)
	v_subrev_co_ci_u32_e64 v9, null, 0, v9, s2
	v_cmp_le_u32_e32 vcc_lo, s20, v16
	v_cndmask_b32_e64 v15, 0, -1, vcc_lo
	s_delay_alu instid0(VALU_DEP_3)
	v_cmp_le_u32_e32 vcc_lo, s21, v9
	v_cndmask_b32_e64 v16, 0, -1, vcc_lo
	v_cmp_le_u32_e32 vcc_lo, s20, v14
	v_cndmask_b32_e64 v19, 0, -1, vcc_lo
	;; [unrolled: 2-line block ×3, first 2 shown]
	v_cmp_eq_u32_e32 vcc_lo, s21, v9
	v_cndmask_b32_e32 v9, v16, v15, vcc_lo
	v_cmp_eq_u32_e32 vcc_lo, s21, v18
	v_add_nc_u64_e32 v[14:15], 2, v[12:13]
	v_add_nc_u64_e32 v[16:17], 1, v[12:13]
	v_cndmask_b32_e32 v18, v20, v19, vcc_lo
	v_cmp_ne_u32_e32 vcc_lo, 0, v9
	s_delay_alu instid0(VALU_DEP_2) | instskip(NEXT) | instid1(VALU_DEP_4)
	v_cmp_ne_u32_e64 s2, 0, v18
	v_dual_cndmask_b32 v14, v16, v14 :: v_dual_cndmask_b32 v9, v17, v15
	s_delay_alu instid0(VALU_DEP_1) | instskip(SKIP_1) | instid1(VALU_DEP_2)
	v_dual_cndmask_b32 v12, v12, v14, s2 :: v_dual_cndmask_b32 v13, v13, v9, s2
	v_mov_b32_e32 v9, v8
	v_xor_b32_e32 v12, v12, v8
	s_delay_alu instid0(VALU_DEP_3) | instskip(NEXT) | instid1(VALU_DEP_1)
	v_xor_b32_e32 v13, v13, v8
	v_sub_nc_u64_e32 v[12:13], v[12:13], v[8:9]
.LBB1_15:
	s_and_not1_saveexec_b32 s2, s3
	s_cbranch_execz .LBB1_17
; %bb.16:
	v_cvt_f32_u32_e32 v8, s12
	s_sub_co_i32 s3, 0, s12
	s_delay_alu instid0(VALU_DEP_1) | instskip(SKIP_1) | instid1(TRANS32_DEP_1)
	v_rcp_iflag_f32_e32 v8, v8
	v_nop
	v_mul_f32_e32 v8, 0x4f7ffffe, v8
	s_delay_alu instid0(VALU_DEP_1) | instskip(NEXT) | instid1(VALU_DEP_1)
	v_cvt_u32_f32_e32 v8, v8
	v_mul_lo_u32 v9, s3, v8
	s_delay_alu instid0(VALU_DEP_1) | instskip(NEXT) | instid1(VALU_DEP_1)
	v_mul_hi_u32 v9, v8, v9
	v_add_nc_u32_e32 v8, v8, v9
	s_delay_alu instid0(VALU_DEP_1) | instskip(NEXT) | instid1(VALU_DEP_1)
	v_mul_hi_u32 v8, v4, v8
	v_mul_lo_u32 v9, v8, s12
	s_delay_alu instid0(VALU_DEP_1) | instskip(NEXT) | instid1(VALU_DEP_1)
	v_sub_nc_u32_e32 v9, v4, v9
	v_subrev_nc_u32_e32 v13, s12, v9
	v_cmp_le_u32_e32 vcc_lo, s12, v9
	s_delay_alu instid0(VALU_DEP_2) | instskip(NEXT) | instid1(VALU_DEP_1)
	v_dual_cndmask_b32 v9, v9, v13 :: v_dual_add_nc_u32 v12, 1, v8
	v_dual_cndmask_b32 v8, v8, v12 :: v_dual_mov_b32 v13, 0
	s_delay_alu instid0(VALU_DEP_2) | instskip(NEXT) | instid1(VALU_DEP_2)
	v_cmp_le_u32_e32 vcc_lo, s12, v9
	v_add_nc_u32_e32 v12, 1, v8
	s_delay_alu instid0(VALU_DEP_1)
	v_cndmask_b32_e32 v12, v8, v12, vcc_lo
.LBB1_17:
	s_or_b32 exec_lo, exec_lo, s2
	s_delay_alu instid0(VALU_DEP_1) | instskip(SKIP_2) | instid1(VALU_DEP_2)
	v_mul_u64_e32 v[8:9], s[12:13], v[12:13]
	s_mov_b32 s2, exec_lo
	v_mov_b32_e32 v14, 0
	v_sub_nc_u64_e32 v[8:9], v[4:5], v[8:9]
                                        ; implicit-def: $vgpr4_vgpr5
	s_delay_alu instid0(VALU_DEP_1) | instskip(NEXT) | instid1(VALU_DEP_1)
	v_or_b32_e32 v15, s9, v9
	v_cmpx_ne_u64_e32 0, v[14:15]
	s_xor_b32 s3, exec_lo, s2
	s_cbranch_execz .LBB1_19
; %bb.18:
	s_ashr_i32 s12, s9, 31
	s_mov_b32 s27, 0
	s_mov_b32 s13, s12
	v_dual_mov_b32 v19, v14 :: v_dual_ashrrev_i32 v4, 31, v9
	s_add_nc_u64 s[14:15], s[8:9], s[12:13]
	v_mov_b32_e32 v21, v14
	s_xor_b64 s[14:15], s[14:15], s[12:13]
	s_delay_alu instid0(VALU_DEP_2)
	v_mov_b32_e32 v5, v4
	s_cvt_f32_u32 s2, s14
	s_cvt_f32_u32 s13, s15
	s_sub_nc_u64 s[22:23], 0, s[14:15]
	v_mov_b32_e32 v27, v14
	v_add_nc_u64_e32 v[16:17], v[8:9], v[4:5]
	s_fmamk_f32 s2, s13, 0x4f800000, s2
	v_mov_b32_e32 v15, v14
	s_delay_alu instid0(SALU_CYCLE_2) | instskip(NEXT) | instid1(VALU_DEP_2)
	v_s_rcp_f32 s2, s2
	v_xor_b32_e32 v18, v16, v4
	s_delay_alu instid0(VALU_DEP_3) | instskip(SKIP_1) | instid1(TRANS32_DEP_1)
	v_xor_b32_e32 v20, v17, v4
	v_xor_b32_e32 v4, s12, v4
	s_mul_f32 s2, s2, 0x5f7ffffc
	s_delay_alu instid0(SALU_CYCLE_3) | instskip(NEXT) | instid1(SALU_CYCLE_3)
	s_mul_f32 s13, s2, 0x2f800000
	s_trunc_f32 s13, s13
	s_delay_alu instid0(SALU_CYCLE_3) | instskip(SKIP_1) | instid1(SALU_CYCLE_2)
	s_fmamk_f32 s2, s13, 0xcf800000, s2
	s_cvt_u32_f32 s21, s13
	s_cvt_u32_f32 s20, s2
	s_delay_alu instid0(SALU_CYCLE_3) | instskip(NEXT) | instid1(SALU_CYCLE_1)
	s_mul_u64 s[24:25], s[22:23], s[20:21]
	s_mul_hi_u32 s29, s20, s25
	s_mul_i32 s28, s20, s25
	s_mul_hi_u32 s26, s20, s24
	s_mul_i32 s13, s21, s24
	s_add_nc_u64 s[28:29], s[26:27], s[28:29]
	s_mul_hi_u32 s2, s21, s24
	s_mul_hi_u32 s30, s21, s25
	s_add_co_u32 s13, s28, s13
	s_add_co_ci_u32 s26, s29, s2
	s_mul_i32 s24, s21, s25
	s_add_co_ci_u32 s25, s30, 0
	s_delay_alu instid0(SALU_CYCLE_1) | instskip(NEXT) | instid1(SALU_CYCLE_1)
	s_add_nc_u64 s[24:25], s[26:27], s[24:25]
	s_add_co_u32 s20, s20, s24
	s_cselect_b32 s2, -1, 0
	s_delay_alu instid0(SALU_CYCLE_1) | instskip(SKIP_1) | instid1(SALU_CYCLE_1)
	s_cmp_lg_u32 s2, 0
	s_add_co_ci_u32 s21, s21, s25
	s_mul_u64 s[22:23], s[22:23], s[20:21]
	s_delay_alu instid0(SALU_CYCLE_1)
	s_mul_hi_u32 s25, s20, s23
	s_mul_i32 s24, s20, s23
	s_mul_hi_u32 s26, s20, s22
	s_mul_i32 s13, s21, s22
	s_add_nc_u64 s[24:25], s[26:27], s[24:25]
	s_mul_hi_u32 s2, s21, s22
	s_mul_hi_u32 s28, s21, s23
	s_add_co_u32 s13, s24, s13
	s_add_co_ci_u32 s26, s25, s2
	s_mul_i32 s22, s21, s23
	s_add_co_ci_u32 s23, s28, 0
	s_delay_alu instid0(SALU_CYCLE_1) | instskip(NEXT) | instid1(SALU_CYCLE_1)
	s_add_nc_u64 s[22:23], s[26:27], s[22:23]
	s_add_co_u32 s2, s20, s22
	s_cselect_b32 s13, -1, 0
	v_mul_hi_u32 v26, v18, s2
	s_cmp_lg_u32 s13, 0
	s_add_co_ci_u32 s26, s21, s23
	s_mov_b64 s[20:21], 0xffffffff
	v_mul_u64_e32 v[22:23], s[26:27], v[18:19]
	s_and_b64 s[20:21], s[2:3], s[20:21]
	v_mul_u64_e32 v[24:25], s[26:27], v[20:21]
	v_mul_u64_e32 v[16:17], s[20:21], v[20:21]
	s_delay_alu instid0(VALU_DEP_3) | instskip(NEXT) | instid1(VALU_DEP_1)
	v_add_nc_u64_e32 v[22:23], v[26:27], v[22:23]
	v_add_co_u32 v5, vcc_lo, v22, v16
	s_delay_alu instid0(VALU_DEP_2) | instskip(SKIP_1) | instid1(VALU_DEP_1)
	v_add_co_ci_u32_e32 v14, vcc_lo, v23, v17, vcc_lo
	v_add_co_ci_u32_e32 v25, vcc_lo, 0, v25, vcc_lo
	v_add_nc_u64_e32 v[14:15], v[14:15], v[24:25]
	s_delay_alu instid0(VALU_DEP_1) | instskip(NEXT) | instid1(VALU_DEP_1)
	v_mul_u64_e32 v[16:17], s[14:15], v[14:15]
	v_sub_nc_u32_e32 v5, v20, v17
	s_delay_alu instid0(VALU_DEP_2) | instskip(NEXT) | instid1(VALU_DEP_1)
	v_sub_co_u32 v16, vcc_lo, v18, v16
	v_sub_co_ci_u32_e64 v20, null, v20, v17, vcc_lo
	s_delay_alu instid0(VALU_DEP_3) | instskip(NEXT) | instid1(VALU_DEP_3)
	v_subrev_co_ci_u32_e64 v5, null, s15, v5, vcc_lo
	v_sub_co_u32 v18, s2, v16, s14
	s_delay_alu instid0(VALU_DEP_1) | instskip(NEXT) | instid1(VALU_DEP_2)
	v_subrev_co_ci_u32_e64 v5, null, 0, v5, s2
	v_cmp_le_u32_e32 vcc_lo, s14, v18
	v_cndmask_b32_e64 v17, 0, -1, vcc_lo
	s_delay_alu instid0(VALU_DEP_3)
	v_cmp_le_u32_e32 vcc_lo, s15, v5
	v_cndmask_b32_e64 v18, 0, -1, vcc_lo
	v_cmp_le_u32_e32 vcc_lo, s14, v16
	v_cndmask_b32_e64 v21, 0, -1, vcc_lo
	v_cmp_le_u32_e32 vcc_lo, s15, v20
	v_cndmask_b32_e64 v22, 0, -1, vcc_lo
	v_cmp_eq_u32_e32 vcc_lo, s15, v5
	v_cndmask_b32_e32 v5, v18, v17, vcc_lo
	v_cmp_eq_u32_e32 vcc_lo, s15, v20
	v_add_nc_u64_e32 v[16:17], 2, v[14:15]
	v_add_nc_u64_e32 v[18:19], 1, v[14:15]
	v_cndmask_b32_e32 v20, v22, v21, vcc_lo
	v_cmp_ne_u32_e32 vcc_lo, 0, v5
	s_delay_alu instid0(VALU_DEP_2) | instskip(NEXT) | instid1(VALU_DEP_4)
	v_cmp_ne_u32_e64 s2, 0, v20
	v_dual_cndmask_b32 v16, v18, v16 :: v_dual_cndmask_b32 v5, v19, v17
	s_delay_alu instid0(VALU_DEP_1) | instskip(NEXT) | instid1(VALU_DEP_1)
	v_dual_cndmask_b32 v14, v14, v16, s2 :: v_dual_cndmask_b32 v15, v15, v5, s2
	v_dual_mov_b32 v5, v4 :: v_dual_bitop2_b32 v14, v14, v4 bitop3:0x14
	s_delay_alu instid0(VALU_DEP_2) | instskip(NEXT) | instid1(VALU_DEP_1)
	v_xor_b32_e32 v15, v15, v4
	v_sub_nc_u64_e32 v[4:5], v[14:15], v[4:5]
.LBB1_19:
	s_and_not1_saveexec_b32 s2, s3
	s_cbranch_execz .LBB1_21
; %bb.20:
	v_cvt_f32_u32_e32 v4, s8
	s_sub_co_i32 s3, 0, s8
	s_delay_alu instid0(VALU_DEP_1) | instskip(SKIP_1) | instid1(TRANS32_DEP_1)
	v_rcp_iflag_f32_e32 v4, v4
	v_nop
	v_mul_f32_e32 v4, 0x4f7ffffe, v4
	s_delay_alu instid0(VALU_DEP_1) | instskip(NEXT) | instid1(VALU_DEP_1)
	v_cvt_u32_f32_e32 v4, v4
	v_mul_lo_u32 v5, s3, v4
	s_delay_alu instid0(VALU_DEP_1) | instskip(NEXT) | instid1(VALU_DEP_1)
	v_mul_hi_u32 v5, v4, v5
	v_add_nc_u32_e32 v4, v4, v5
	s_delay_alu instid0(VALU_DEP_1) | instskip(NEXT) | instid1(VALU_DEP_1)
	v_mul_hi_u32 v4, v8, v4
	v_mul_lo_u32 v5, v4, s8
	s_delay_alu instid0(VALU_DEP_1) | instskip(NEXT) | instid1(VALU_DEP_1)
	v_dual_add_nc_u32 v14, 1, v4 :: v_dual_sub_nc_u32 v5, v8, v5
	v_subrev_nc_u32_e32 v15, s8, v5
	v_cmp_le_u32_e32 vcc_lo, s8, v5
	s_delay_alu instid0(VALU_DEP_2) | instskip(NEXT) | instid1(VALU_DEP_1)
	v_dual_cndmask_b32 v5, v5, v15 :: v_dual_cndmask_b32 v4, v4, v14
	v_cmp_le_u32_e32 vcc_lo, s8, v5
	s_delay_alu instid0(VALU_DEP_2) | instskip(NEXT) | instid1(VALU_DEP_1)
	v_dual_mov_b32 v5, 0 :: v_dual_add_nc_u32 v14, 1, v4
	v_cndmask_b32_e32 v4, v4, v14, vcc_lo
.LBB1_21:
	s_or_b32 exec_lo, exec_lo, s2
	s_delay_alu instid0(VALU_DEP_1) | instskip(SKIP_1) | instid1(VALU_DEP_1)
	v_mul_u64_e32 v[14:15], s[8:9], v[4:5]
                                        ; implicit-def: $vgpr16_vgpr17
	s_mov_b32 s2, exec_lo
	v_sub_nc_u64_e32 v[8:9], v[8:9], v[14:15]
	s_delay_alu instid0(VALU_DEP_1) | instskip(NEXT) | instid1(VALU_DEP_1)
	v_dual_mov_b32 v14, 0 :: v_dual_bitop2_b32 v15, s41, v9 bitop3:0x54
	v_cmpx_ne_u64_e32 0, v[14:15]
	s_xor_b32 s3, exec_lo, s2
	s_cbranch_execz .LBB1_23
; %bb.22:
	s_ashr_i32 s8, s41, 31
	s_mov_b32 s25, 0
	s_mov_b32 s9, s8
	v_dual_mov_b32 v21, v14 :: v_dual_ashrrev_i32 v16, 31, v9
	s_add_nc_u64 s[12:13], s[40:41], s[8:9]
	v_dual_mov_b32 v29, v14 :: v_dual_mov_b32 v15, v14
	s_xor_b64 s[12:13], s[12:13], s[8:9]
	s_delay_alu instid0(VALU_DEP_2) | instskip(SKIP_3) | instid1(VALU_DEP_1)
	v_mov_b32_e32 v17, v16
	s_cvt_f32_u32 s2, s12
	s_cvt_f32_u32 s9, s13
	s_sub_nc_u64 s[20:21], 0, s[12:13]
	v_add_nc_u64_e32 v[18:19], v[8:9], v[16:17]
	s_delay_alu instid0(SALU_CYCLE_1) | instskip(SKIP_1) | instid1(SALU_CYCLE_2)
	s_fmamk_f32 s2, s9, 0x4f800000, s2
	v_mov_b32_e32 v23, v14
	v_s_rcp_f32 s2, s2
	s_delay_alu instid0(VALU_DEP_2) | instskip(NEXT) | instid1(VALU_DEP_3)
	v_xor_b32_e32 v20, v18, v16
	v_xor_b32_e32 v22, v19, v16
	;; [unrolled: 1-line block ×3, first 2 shown]
	s_delay_alu instid0(TRANS32_DEP_1) | instskip(NEXT) | instid1(SALU_CYCLE_3)
	s_mul_f32 s2, s2, 0x5f7ffffc
	s_mul_f32 s9, s2, 0x2f800000
	s_delay_alu instid0(SALU_CYCLE_3) | instskip(NEXT) | instid1(SALU_CYCLE_3)
	s_trunc_f32 s9, s9
	s_fmamk_f32 s2, s9, 0xcf800000, s2
	s_cvt_u32_f32 s15, s9
	s_delay_alu instid0(SALU_CYCLE_2) | instskip(NEXT) | instid1(SALU_CYCLE_3)
	s_cvt_u32_f32 s14, s2
	s_mul_u64 s[22:23], s[20:21], s[14:15]
	s_delay_alu instid0(SALU_CYCLE_1)
	s_mul_hi_u32 s27, s14, s23
	s_mul_i32 s26, s14, s23
	s_mul_hi_u32 s24, s14, s22
	s_mul_i32 s9, s15, s22
	s_add_nc_u64 s[26:27], s[24:25], s[26:27]
	s_mul_hi_u32 s2, s15, s22
	s_mul_hi_u32 s28, s15, s23
	s_add_co_u32 s9, s26, s9
	s_add_co_ci_u32 s24, s27, s2
	s_mul_i32 s22, s15, s23
	s_add_co_ci_u32 s23, s28, 0
	s_delay_alu instid0(SALU_CYCLE_1) | instskip(NEXT) | instid1(SALU_CYCLE_1)
	s_add_nc_u64 s[22:23], s[24:25], s[22:23]
	s_add_co_u32 s14, s14, s22
	s_cselect_b32 s2, -1, 0
	s_delay_alu instid0(SALU_CYCLE_1) | instskip(SKIP_1) | instid1(SALU_CYCLE_1)
	s_cmp_lg_u32 s2, 0
	s_add_co_ci_u32 s15, s15, s23
	s_mul_u64 s[20:21], s[20:21], s[14:15]
	s_delay_alu instid0(SALU_CYCLE_1)
	s_mul_hi_u32 s23, s14, s21
	s_mul_i32 s22, s14, s21
	s_mul_hi_u32 s24, s14, s20
	s_mul_i32 s9, s15, s20
	s_add_nc_u64 s[22:23], s[24:25], s[22:23]
	s_mul_hi_u32 s2, s15, s20
	s_mul_hi_u32 s26, s15, s21
	s_add_co_u32 s9, s22, s9
	s_add_co_ci_u32 s24, s23, s2
	s_mul_i32 s20, s15, s21
	s_add_co_ci_u32 s21, s26, 0
	s_delay_alu instid0(SALU_CYCLE_1) | instskip(NEXT) | instid1(SALU_CYCLE_1)
	s_add_nc_u64 s[20:21], s[24:25], s[20:21]
	s_add_co_u32 s2, s14, s20
	s_cselect_b32 s9, -1, 0
	v_mul_hi_u32 v28, v20, s2
	s_cmp_lg_u32 s9, 0
	s_add_co_ci_u32 s24, s15, s21
	s_mov_b64 s[14:15], 0xffffffff
	v_mul_u64_e32 v[24:25], s[24:25], v[20:21]
	s_and_b64 s[14:15], s[2:3], s[14:15]
	v_mul_u64_e32 v[26:27], s[24:25], v[22:23]
	v_mul_u64_e32 v[18:19], s[14:15], v[22:23]
	s_delay_alu instid0(VALU_DEP_3) | instskip(NEXT) | instid1(VALU_DEP_1)
	v_add_nc_u64_e32 v[24:25], v[28:29], v[24:25]
	v_add_co_u32 v14, vcc_lo, v24, v18
	s_delay_alu instid0(VALU_DEP_2) | instskip(SKIP_1) | instid1(VALU_DEP_1)
	v_add_co_ci_u32_e32 v14, vcc_lo, v25, v19, vcc_lo
	v_add_co_ci_u32_e32 v27, vcc_lo, 0, v27, vcc_lo
	v_add_nc_u64_e32 v[14:15], v[14:15], v[26:27]
	s_delay_alu instid0(VALU_DEP_1) | instskip(NEXT) | instid1(VALU_DEP_1)
	v_mul_u64_e32 v[18:19], s[12:13], v[14:15]
	v_sub_nc_u32_e32 v17, v22, v19
	s_delay_alu instid0(VALU_DEP_2) | instskip(NEXT) | instid1(VALU_DEP_1)
	v_sub_co_u32 v18, vcc_lo, v20, v18
	v_sub_co_ci_u32_e64 v22, null, v22, v19, vcc_lo
	s_delay_alu instid0(VALU_DEP_3) | instskip(NEXT) | instid1(VALU_DEP_3)
	v_subrev_co_ci_u32_e64 v17, null, s13, v17, vcc_lo
	v_sub_co_u32 v20, s2, v18, s12
	s_delay_alu instid0(VALU_DEP_1) | instskip(NEXT) | instid1(VALU_DEP_2)
	v_subrev_co_ci_u32_e64 v17, null, 0, v17, s2
	v_cmp_le_u32_e32 vcc_lo, s12, v20
	v_cndmask_b32_e64 v19, 0, -1, vcc_lo
	s_delay_alu instid0(VALU_DEP_3)
	v_cmp_le_u32_e32 vcc_lo, s13, v17
	v_cndmask_b32_e64 v20, 0, -1, vcc_lo
	v_cmp_le_u32_e32 vcc_lo, s12, v18
	v_cndmask_b32_e64 v23, 0, -1, vcc_lo
	;; [unrolled: 2-line block ×3, first 2 shown]
	v_cmp_eq_u32_e32 vcc_lo, s13, v17
	v_cndmask_b32_e32 v17, v20, v19, vcc_lo
	v_cmp_eq_u32_e32 vcc_lo, s13, v22
	v_add_nc_u64_e32 v[18:19], 2, v[14:15]
	v_add_nc_u64_e32 v[20:21], 1, v[14:15]
	v_cndmask_b32_e32 v22, v24, v23, vcc_lo
	v_cmp_ne_u32_e32 vcc_lo, 0, v17
	s_delay_alu instid0(VALU_DEP_2) | instskip(NEXT) | instid1(VALU_DEP_4)
	v_cmp_ne_u32_e64 s2, 0, v22
	v_dual_cndmask_b32 v18, v20, v18 :: v_dual_cndmask_b32 v17, v21, v19
	s_delay_alu instid0(VALU_DEP_1) | instskip(NEXT) | instid1(VALU_DEP_1)
	v_dual_cndmask_b32 v14, v14, v18, s2 :: v_dual_cndmask_b32 v15, v15, v17, s2
	v_dual_mov_b32 v17, v16 :: v_dual_bitop2_b32 v14, v14, v16 bitop3:0x14
	s_delay_alu instid0(VALU_DEP_2) | instskip(NEXT) | instid1(VALU_DEP_1)
	v_xor_b32_e32 v15, v15, v16
	v_sub_nc_u64_e32 v[16:17], v[14:15], v[16:17]
.LBB1_23:
	s_and_not1_saveexec_b32 s2, s3
	s_cbranch_execz .LBB1_25
; %bb.24:
	v_cvt_f32_u32_e32 v14, s40
	s_sub_co_i32 s3, 0, s40
	s_delay_alu instid0(VALU_DEP_1) | instskip(SKIP_1) | instid1(TRANS32_DEP_1)
	v_rcp_iflag_f32_e32 v14, v14
	v_nop
	v_mul_f32_e32 v14, 0x4f7ffffe, v14
	s_delay_alu instid0(VALU_DEP_1) | instskip(NEXT) | instid1(VALU_DEP_1)
	v_cvt_u32_f32_e32 v14, v14
	v_mul_lo_u32 v15, s3, v14
	s_delay_alu instid0(VALU_DEP_1) | instskip(NEXT) | instid1(VALU_DEP_1)
	v_mul_hi_u32 v15, v14, v15
	v_add_nc_u32_e32 v14, v14, v15
	s_delay_alu instid0(VALU_DEP_1) | instskip(NEXT) | instid1(VALU_DEP_1)
	v_mul_hi_u32 v14, v8, v14
	v_mul_lo_u32 v15, v14, s40
	s_delay_alu instid0(VALU_DEP_1) | instskip(NEXT) | instid1(VALU_DEP_1)
	v_dual_add_nc_u32 v16, 1, v14 :: v_dual_sub_nc_u32 v15, v8, v15
	v_subrev_nc_u32_e32 v17, s40, v15
	v_cmp_le_u32_e32 vcc_lo, s40, v15
	s_delay_alu instid0(VALU_DEP_2) | instskip(NEXT) | instid1(VALU_DEP_4)
	v_dual_cndmask_b32 v15, v15, v17, vcc_lo :: v_dual_mov_b32 v17, 0
	v_cndmask_b32_e32 v14, v14, v16, vcc_lo
	s_delay_alu instid0(VALU_DEP_2) | instskip(NEXT) | instid1(VALU_DEP_2)
	v_cmp_le_u32_e32 vcc_lo, s40, v15
	v_add_nc_u32_e32 v16, 1, v14
	s_delay_alu instid0(VALU_DEP_1)
	v_cndmask_b32_e32 v16, v14, v16, vcc_lo
.LBB1_25:
	s_or_b32 exec_lo, exec_lo, s2
	v_mul_u64_e32 v[14:15], s[10:11], v[10:11]
	s_load_b64 s[0:1], s[0:1], 0x80
	s_delay_alu instid0(VALU_DEP_1) | instskip(NEXT) | instid1(VALU_DEP_1)
	v_sub_nc_u64_e32 v[6:7], v[6:7], v[14:15]
	v_dual_mov_b32 v15, 0 :: v_dual_ashrrev_i32 v14, 31, v7
	s_delay_alu instid0(VALU_DEP_1) | instskip(NEXT) | instid1(VALU_DEP_1)
	v_lshrrev_b32_e32 v14, 27, v14
	v_add_nc_u64_e32 v[6:7], v[6:7], v[14:15]
	s_delay_alu instid0(VALU_DEP_1) | instskip(NEXT) | instid1(VALU_DEP_1)
	v_ashrrev_i64 v[6:7], 5, v[6:7]
	v_mad_nc_u64_u32 v[14:15], v6, s16, s[4:5]
	s_delay_alu instid0(VALU_DEP_1) | instskip(NEXT) | instid1(VALU_DEP_1)
	v_mad_u32 v7, v7, s16, v15
	v_mad_u32 v15, v6, s17, v7
	s_delay_alu instid0(VALU_DEP_1) | instskip(NEXT) | instid1(VALU_DEP_1)
	v_mad_nc_u64_u32 v[6:7], v10, s18, v[14:15]
	v_mad_u32 v7, v11, s18, v7
	s_delay_alu instid0(VALU_DEP_1) | instskip(NEXT) | instid1(VALU_DEP_1)
	v_mad_u32 v7, v10, s19, v7
	v_mad_nc_u64_u32 v[6:7], v2, s36, v[6:7]
	s_delay_alu instid0(VALU_DEP_1) | instskip(NEXT) | instid1(VALU_DEP_1)
	v_mad_u32 v3, v3, s36, v7
	v_mad_u32 v7, v2, s37, v3
	s_delay_alu instid0(VALU_DEP_1) | instskip(NEXT) | instid1(VALU_DEP_1)
	v_mad_nc_u64_u32 v[2:3], v0, s38, v[6:7]
	v_mad_u32 v1, v1, s38, v3
	s_delay_alu instid0(VALU_DEP_1)
	v_mad_u32 v3, v0, s39, v1
	v_mul_u64_e32 v[0:1], s[40:41], v[16:17]
	s_clause 0x1
	global_load_u16 v10, v[2:3], off offset:2
	global_load_u16 v11, v[2:3], off
	v_sub_nc_u64_e32 v[0:1], v[8:9], v[0:1]
	s_delay_alu instid0(VALU_DEP_1) | instskip(NEXT) | instid1(VALU_DEP_1)
	v_mad_nc_u64_u32 v[6:7], v0, s46, s[6:7]
	v_mad_u32 v1, v1, s46, v7
	s_delay_alu instid0(VALU_DEP_1) | instskip(NEXT) | instid1(VALU_DEP_1)
	v_mad_u32 v7, v0, s47, v1
	v_mad_nc_u64_u32 v[0:1], v16, s48, v[6:7]
	s_delay_alu instid0(VALU_DEP_1) | instskip(NEXT) | instid1(VALU_DEP_1)
	v_mad_u32 v1, v17, s48, v1
	v_mad_u32 v1, v16, s49, v1
	s_delay_alu instid0(VALU_DEP_1) | instskip(NEXT) | instid1(VALU_DEP_1)
	v_mad_nc_u64_u32 v[0:1], v4, s50, v[0:1]
	v_mad_u32 v1, v5, s50, v1
	s_delay_alu instid0(VALU_DEP_1) | instskip(SKIP_1) | instid1(VALU_DEP_1)
	v_mad_u32 v1, v4, s51, v1
	s_wait_kmcnt 0x0
	v_mad_nc_u64_u32 v[0:1], v12, s0, v[0:1]
	s_delay_alu instid0(VALU_DEP_1) | instskip(NEXT) | instid1(VALU_DEP_1)
	v_mad_u32 v1, v13, s0, v1
	v_mad_u32 v1, v12, s1, v1
	s_wait_loadcnt 0x1
	v_ashrrev_i16 v4, 8, v10
	v_bfe_i32 v5, v10, 0, 8
	s_delay_alu instid0(VALU_DEP_2) | instskip(NEXT) | instid1(VALU_DEP_2)
	v_bfe_i32 v6, v4, 0, 16
	v_bfe_i32 v5, v5, 0, 16
	s_wait_loadcnt 0x0
	v_cvt_f32_f16_e32 v4, v11
	s_delay_alu instid0(VALU_DEP_3) | instskip(NEXT) | instid1(VALU_DEP_3)
	v_cvt_f32_i32_e32 v7, v6
	v_cvt_f32_i32_e32 v6, v5
	s_delay_alu instid0(VALU_DEP_1)
	v_pk_mul_f32 v[4:5], v[4:5], v[6:7] op_sel_hi:[0,1]
	global_store_b64 v[0:1], v[4:5], off
	s_clause 0x1
	global_load_u16 v4, v[2:3], off offset:4
	global_load_u16 v5, v[2:3], off
	s_wait_loadcnt 0x1
	v_ashrrev_i16 v6, 8, v4
	v_bfe_i32 v4, v4, 0, 8
	s_delay_alu instid0(VALU_DEP_2) | instskip(NEXT) | instid1(VALU_DEP_2)
	v_bfe_i32 v6, v6, 0, 16
	v_bfe_i32 v8, v4, 0, 16
	s_wait_loadcnt 0x0
	v_cvt_f32_f16_e32 v4, v5
	s_delay_alu instid0(VALU_DEP_3) | instskip(NEXT) | instid1(VALU_DEP_3)
	v_cvt_f32_i32_e32 v7, v6
	v_cvt_f32_i32_e32 v6, v8
	s_delay_alu instid0(VALU_DEP_1)
	v_pk_mul_f32 v[4:5], v[4:5], v[6:7] op_sel_hi:[0,1]
	global_store_b64 v[0:1], v[4:5], off offset:8
	s_clause 0x1
	global_load_u16 v4, v[2:3], off offset:6
	global_load_u16 v5, v[2:3], off
	s_wait_loadcnt 0x1
	v_ashrrev_i16 v6, 8, v4
	v_bfe_i32 v4, v4, 0, 8
	s_delay_alu instid0(VALU_DEP_2) | instskip(NEXT) | instid1(VALU_DEP_2)
	v_bfe_i32 v6, v6, 0, 16
	v_bfe_i32 v8, v4, 0, 16
	s_wait_loadcnt 0x0
	v_cvt_f32_f16_e32 v4, v5
	s_delay_alu instid0(VALU_DEP_3) | instskip(NEXT) | instid1(VALU_DEP_3)
	v_cvt_f32_i32_e32 v7, v6
	v_cvt_f32_i32_e32 v6, v8
	s_delay_alu instid0(VALU_DEP_1)
	v_pk_mul_f32 v[4:5], v[4:5], v[6:7] op_sel_hi:[0,1]
	global_store_b64 v[0:1], v[4:5], off offset:16
	;; [unrolled: 17-line block ×14, first 2 shown]
	s_clause 0x1
	global_load_u16 v4, v[2:3], off offset:32
	global_load_u16 v5, v[2:3], off
	s_wait_loadcnt 0x1
	s_wait_xcnt 0x0
	v_ashrrev_i16 v2, 8, v4
	v_bfe_i32 v3, v4, 0, 8
	s_delay_alu instid0(VALU_DEP_2) | instskip(NEXT) | instid1(VALU_DEP_2)
	v_bfe_i32 v4, v2, 0, 16
	v_bfe_i32 v3, v3, 0, 16
	s_wait_loadcnt 0x0
	v_cvt_f32_f16_e32 v2, v5
	s_delay_alu instid0(VALU_DEP_3) | instskip(NEXT) | instid1(VALU_DEP_3)
	v_cvt_f32_i32_e32 v5, v4
	v_cvt_f32_i32_e32 v4, v3
	s_delay_alu instid0(VALU_DEP_1)
	v_pk_mul_f32 v[2:3], v[2:3], v[4:5] op_sel_hi:[0,1]
	global_store_b64 v[0:1], v[2:3], off offset:120
.LBB1_26:
	s_endpgm
	.section	.rodata,"a",@progbits
	.p2align	6, 0x0
	.amdhsa_kernel _ZL9cpy_q_f32IXadL_ZL17cpy_blck_q8_0_f32PKcPcEELi32EEvS1_S2_lllllllllllllll
		.amdhsa_group_segment_fixed_size 0
		.amdhsa_private_segment_fixed_size 0
		.amdhsa_kernarg_size 392
		.amdhsa_user_sgpr_count 2
		.amdhsa_user_sgpr_dispatch_ptr 0
		.amdhsa_user_sgpr_queue_ptr 0
		.amdhsa_user_sgpr_kernarg_segment_ptr 1
		.amdhsa_user_sgpr_dispatch_id 0
		.amdhsa_user_sgpr_kernarg_preload_length 0
		.amdhsa_user_sgpr_kernarg_preload_offset 0
		.amdhsa_user_sgpr_private_segment_size 0
		.amdhsa_wavefront_size32 1
		.amdhsa_uses_dynamic_stack 0
		.amdhsa_enable_private_segment 0
		.amdhsa_system_sgpr_workgroup_id_x 1
		.amdhsa_system_sgpr_workgroup_id_y 0
		.amdhsa_system_sgpr_workgroup_id_z 0
		.amdhsa_system_sgpr_workgroup_info 0
		.amdhsa_system_vgpr_workitem_id 0
		.amdhsa_next_free_vgpr 30
		.amdhsa_next_free_sgpr 52
		.amdhsa_named_barrier_count 0
		.amdhsa_reserve_vcc 1
		.amdhsa_float_round_mode_32 0
		.amdhsa_float_round_mode_16_64 0
		.amdhsa_float_denorm_mode_32 3
		.amdhsa_float_denorm_mode_16_64 3
		.amdhsa_fp16_overflow 0
		.amdhsa_memory_ordered 1
		.amdhsa_forward_progress 1
		.amdhsa_inst_pref_size 54
		.amdhsa_round_robin_scheduling 0
		.amdhsa_exception_fp_ieee_invalid_op 0
		.amdhsa_exception_fp_denorm_src 0
		.amdhsa_exception_fp_ieee_div_zero 0
		.amdhsa_exception_fp_ieee_overflow 0
		.amdhsa_exception_fp_ieee_underflow 0
		.amdhsa_exception_fp_ieee_inexact 0
		.amdhsa_exception_int_div_zero 0
	.end_amdhsa_kernel
	.section	.text._ZL9cpy_q_f32IXadL_ZL17cpy_blck_q8_0_f32PKcPcEELi32EEvS1_S2_lllllllllllllll,"axG",@progbits,_ZL9cpy_q_f32IXadL_ZL17cpy_blck_q8_0_f32PKcPcEELi32EEvS1_S2_lllllllllllllll,comdat
.Lfunc_end1:
	.size	_ZL9cpy_q_f32IXadL_ZL17cpy_blck_q8_0_f32PKcPcEELi32EEvS1_S2_lllllllllllllll, .Lfunc_end1-_ZL9cpy_q_f32IXadL_ZL17cpy_blck_q8_0_f32PKcPcEELi32EEvS1_S2_lllllllllllllll
                                        ; -- End function
	.set _ZL9cpy_q_f32IXadL_ZL17cpy_blck_q8_0_f32PKcPcEELi32EEvS1_S2_lllllllllllllll.num_vgpr, 30
	.set _ZL9cpy_q_f32IXadL_ZL17cpy_blck_q8_0_f32PKcPcEELi32EEvS1_S2_lllllllllllllll.num_agpr, 0
	.set _ZL9cpy_q_f32IXadL_ZL17cpy_blck_q8_0_f32PKcPcEELi32EEvS1_S2_lllllllllllllll.numbered_sgpr, 52
	.set _ZL9cpy_q_f32IXadL_ZL17cpy_blck_q8_0_f32PKcPcEELi32EEvS1_S2_lllllllllllllll.num_named_barrier, 0
	.set _ZL9cpy_q_f32IXadL_ZL17cpy_blck_q8_0_f32PKcPcEELi32EEvS1_S2_lllllllllllllll.private_seg_size, 0
	.set _ZL9cpy_q_f32IXadL_ZL17cpy_blck_q8_0_f32PKcPcEELi32EEvS1_S2_lllllllllllllll.uses_vcc, 1
	.set _ZL9cpy_q_f32IXadL_ZL17cpy_blck_q8_0_f32PKcPcEELi32EEvS1_S2_lllllllllllllll.uses_flat_scratch, 0
	.set _ZL9cpy_q_f32IXadL_ZL17cpy_blck_q8_0_f32PKcPcEELi32EEvS1_S2_lllllllllllllll.has_dyn_sized_stack, 0
	.set _ZL9cpy_q_f32IXadL_ZL17cpy_blck_q8_0_f32PKcPcEELi32EEvS1_S2_lllllllllllllll.has_recursion, 0
	.set _ZL9cpy_q_f32IXadL_ZL17cpy_blck_q8_0_f32PKcPcEELi32EEvS1_S2_lllllllllllllll.has_indirect_call, 0
	.section	.AMDGPU.csdata,"",@progbits
; Kernel info:
; codeLenInByte = 6812
; TotalNumSgprs: 54
; NumVgprs: 30
; ScratchSize: 0
; MemoryBound: 0
; FloatMode: 240
; IeeeMode: 1
; LDSByteSize: 0 bytes/workgroup (compile time only)
; SGPRBlocks: 0
; VGPRBlocks: 1
; NumSGPRsForWavesPerEU: 54
; NumVGPRsForWavesPerEU: 30
; NamedBarCnt: 0
; Occupancy: 16
; WaveLimiterHint : 0
; COMPUTE_PGM_RSRC2:SCRATCH_EN: 0
; COMPUTE_PGM_RSRC2:USER_SGPR: 2
; COMPUTE_PGM_RSRC2:TRAP_HANDLER: 0
; COMPUTE_PGM_RSRC2:TGID_X_EN: 1
; COMPUTE_PGM_RSRC2:TGID_Y_EN: 0
; COMPUTE_PGM_RSRC2:TGID_Z_EN: 0
; COMPUTE_PGM_RSRC2:TIDIG_COMP_CNT: 0
	.section	.text._ZL9cpy_f32_qIXadL_ZL17cpy_blck_f32_q4_0PKcPcEELi32EEvS1_S2_lllllllllllllll,"axG",@progbits,_ZL9cpy_f32_qIXadL_ZL17cpy_blck_f32_q4_0PKcPcEELi32EEvS1_S2_lllllllllllllll,comdat
	.globl	_ZL9cpy_f32_qIXadL_ZL17cpy_blck_f32_q4_0PKcPcEELi32EEvS1_S2_lllllllllllllll ; -- Begin function _ZL9cpy_f32_qIXadL_ZL17cpy_blck_f32_q4_0PKcPcEELi32EEvS1_S2_lllllllllllllll
	.p2align	8
	.type	_ZL9cpy_f32_qIXadL_ZL17cpy_blck_f32_q4_0PKcPcEELi32EEvS1_S2_lllllllllllllll,@function
_ZL9cpy_f32_qIXadL_ZL17cpy_blck_f32_q4_0PKcPcEELi32EEvS1_S2_lllllllllllllll: ; @_ZL9cpy_f32_qIXadL_ZL17cpy_blck_f32_q4_0PKcPcEELi32EEvS1_S2_lllllllllllllll
; %bb.0:
	s_load_b32 s2, s[0:1], 0x94
	s_bfe_u32 s3, ttmp6, 0x4000c
	v_mov_b32_e32 v2, 0
	s_add_co_i32 s3, s3, 1
	s_and_b32 s4, ttmp6, 15
	s_mul_i32 s3, ttmp9, s3
	s_getreg_b32 s5, hwreg(HW_REG_IB_STS2, 6, 4)
	v_mov_b32_e32 v1, v2
	s_add_co_i32 s3, s4, s3
	s_wait_kmcnt 0x0
	s_and_b32 s2, s2, 0xffff
	s_cmp_eq_u32 s5, 0
	s_load_b512 s[4:19], s[0:1], 0x0
	s_cselect_b32 s3, ttmp9, s3
	s_delay_alu instid0(SALU_CYCLE_1) | instskip(SKIP_1) | instid1(VALU_DEP_1)
	v_mad_nc_u64_u32 v[0:1], s2, s3, v[0:1]
	s_mov_b32 s2, exec_lo
	v_lshlrev_b64_e32 v[4:5], 5, v[0:1]
	s_wait_kmcnt 0x0
	s_delay_alu instid0(VALU_DEP_1)
	v_cmpx_gt_i64_e64 s[8:9], v[4:5]
	s_cbranch_execz .LBB2_26
; %bb.1:
	s_mul_u64 s[8:9], s[12:13], s[10:11]
                                        ; implicit-def: $vgpr0_vgpr1
	s_mov_b32 s2, exec_lo
	s_mul_u64 s[12:13], s[8:9], s[14:15]
	s_delay_alu instid0(SALU_CYCLE_1) | instskip(NEXT) | instid1(VALU_DEP_1)
	v_dual_ashrrev_i32 v8, 31, v5 :: v_dual_bitop2_b32 v3, s13, v5 bitop3:0x54
	v_cmpx_ne_u64_e32 0, v[2:3]
	s_xor_b32 s3, exec_lo, s2
	s_cbranch_execz .LBB2_3
; %bb.2:
	s_ashr_i32 s14, s13, 31
	s_mov_b32 s29, 0
	s_mov_b32 s15, s14
	v_dual_mov_b32 v9, v8 :: v_dual_mov_b32 v3, 0
	s_add_nc_u64 s[20:21], s[12:13], s[14:15]
	s_delay_alu instid0(SALU_CYCLE_1) | instskip(NEXT) | instid1(VALU_DEP_1)
	s_xor_b64 s[20:21], s[20:21], s[14:15]
	v_add_nc_u64_e32 v[0:1], v[4:5], v[8:9]
	s_cvt_f32_u32 s2, s20
	s_cvt_f32_u32 s15, s21
	s_sub_nc_u64 s[24:25], 0, s[20:21]
	v_dual_mov_b32 v7, v3 :: v_dual_mov_b32 v15, v3
	s_delay_alu instid0(SALU_CYCLE_1) | instskip(NEXT) | instid1(VALU_DEP_2)
	s_fmamk_f32 s2, s15, 0x4f800000, s2
	v_xor_b32_e32 v2, v0, v8
	v_xor_b32_e32 v6, v1, v8
	s_delay_alu instid0(SALU_CYCLE_1) | instskip(NEXT) | instid1(TRANS32_DEP_1)
	v_s_rcp_f32 s2, s2
	s_mul_f32 s2, s2, 0x5f7ffffc
	s_delay_alu instid0(SALU_CYCLE_3) | instskip(NEXT) | instid1(SALU_CYCLE_3)
	s_mul_f32 s15, s2, 0x2f800000
	s_trunc_f32 s15, s15
	s_delay_alu instid0(SALU_CYCLE_3) | instskip(SKIP_1) | instid1(SALU_CYCLE_2)
	s_fmamk_f32 s2, s15, 0xcf800000, s2
	s_cvt_u32_f32 s23, s15
	s_cvt_u32_f32 s22, s2
	s_delay_alu instid0(SALU_CYCLE_3) | instskip(NEXT) | instid1(SALU_CYCLE_1)
	s_mul_u64 s[26:27], s[24:25], s[22:23]
	s_mul_hi_u32 s31, s22, s27
	s_mul_i32 s30, s22, s27
	s_mul_hi_u32 s28, s22, s26
	s_mul_i32 s15, s23, s26
	s_add_nc_u64 s[30:31], s[28:29], s[30:31]
	s_mul_hi_u32 s2, s23, s26
	s_mul_hi_u32 s33, s23, s27
	s_add_co_u32 s15, s30, s15
	s_add_co_ci_u32 s28, s31, s2
	s_mul_i32 s26, s23, s27
	s_add_co_ci_u32 s27, s33, 0
	s_delay_alu instid0(SALU_CYCLE_1) | instskip(NEXT) | instid1(SALU_CYCLE_1)
	s_add_nc_u64 s[26:27], s[28:29], s[26:27]
	s_add_co_u32 s22, s22, s26
	s_cselect_b32 s2, -1, 0
	s_delay_alu instid0(SALU_CYCLE_1) | instskip(SKIP_1) | instid1(SALU_CYCLE_1)
	s_cmp_lg_u32 s2, 0
	s_add_co_ci_u32 s23, s23, s27
	s_mul_u64 s[24:25], s[24:25], s[22:23]
	s_delay_alu instid0(SALU_CYCLE_1)
	s_mul_hi_u32 s27, s22, s25
	s_mul_i32 s26, s22, s25
	s_mul_hi_u32 s28, s22, s24
	s_mul_i32 s15, s23, s24
	s_add_nc_u64 s[26:27], s[28:29], s[26:27]
	s_mul_hi_u32 s2, s23, s24
	s_mul_hi_u32 s30, s23, s25
	s_add_co_u32 s15, s26, s15
	s_add_co_ci_u32 s28, s27, s2
	s_mul_i32 s24, s23, s25
	s_add_co_ci_u32 s25, s30, 0
	s_delay_alu instid0(SALU_CYCLE_1) | instskip(NEXT) | instid1(SALU_CYCLE_1)
	s_add_nc_u64 s[24:25], s[28:29], s[24:25]
	s_add_co_u32 s2, s22, s24
	s_cselect_b32 s15, -1, 0
	v_nop
	v_mul_hi_u32 v14, v2, s2
	s_cmp_lg_u32 s15, 0
	s_add_co_ci_u32 s28, s23, s25
	s_mov_b64 s[22:23], 0xffffffff
	v_mul_u64_e32 v[10:11], s[28:29], v[2:3]
	s_and_b64 s[22:23], s[2:3], s[22:23]
	v_mul_u64_e32 v[12:13], s[28:29], v[6:7]
	v_mul_u64_e32 v[0:1], s[22:23], v[6:7]
	s_delay_alu instid0(VALU_DEP_3) | instskip(NEXT) | instid1(VALU_DEP_1)
	v_add_nc_u64_e32 v[10:11], v[14:15], v[10:11]
	v_add_co_u32 v0, vcc_lo, v10, v0
	s_delay_alu instid0(VALU_DEP_2) | instskip(SKIP_1) | instid1(VALU_DEP_1)
	v_add_co_ci_u32_e32 v14, vcc_lo, v11, v1, vcc_lo
	v_add_co_ci_u32_e32 v13, vcc_lo, 0, v13, vcc_lo
	v_add_nc_u64_e32 v[0:1], v[14:15], v[12:13]
	s_delay_alu instid0(VALU_DEP_1) | instskip(NEXT) | instid1(VALU_DEP_1)
	v_mul_u64_e32 v[10:11], s[20:21], v[0:1]
	v_sub_nc_u32_e32 v3, v6, v11
	s_delay_alu instid0(VALU_DEP_2) | instskip(NEXT) | instid1(VALU_DEP_1)
	v_sub_co_u32 v2, vcc_lo, v2, v10
	v_sub_co_ci_u32_e64 v9, null, v6, v11, vcc_lo
	s_delay_alu instid0(VALU_DEP_3) | instskip(NEXT) | instid1(VALU_DEP_3)
	v_subrev_co_ci_u32_e64 v3, null, s21, v3, vcc_lo
	v_sub_co_u32 v7, s2, v2, s20
	s_delay_alu instid0(VALU_DEP_1) | instskip(NEXT) | instid1(VALU_DEP_2)
	v_subrev_co_ci_u32_e64 v3, null, 0, v3, s2
	v_cmp_le_u32_e32 vcc_lo, s20, v7
	v_cndmask_b32_e64 v6, 0, -1, vcc_lo
	s_delay_alu instid0(VALU_DEP_3)
	v_cmp_le_u32_e32 vcc_lo, s21, v3
	v_cndmask_b32_e64 v7, 0, -1, vcc_lo
	v_cmp_le_u32_e32 vcc_lo, s20, v2
	v_cndmask_b32_e64 v10, 0, -1, vcc_lo
	;; [unrolled: 2-line block ×3, first 2 shown]
	v_cmp_eq_u32_e32 vcc_lo, s21, v3
	v_add_nc_u64_e32 v[2:3], 2, v[0:1]
	v_cndmask_b32_e32 v12, v7, v6, vcc_lo
	v_cmp_eq_u32_e32 vcc_lo, s21, v9
	v_add_nc_u64_e32 v[6:7], 1, v[0:1]
	v_cndmask_b32_e32 v9, v11, v10, vcc_lo
	s_delay_alu instid0(VALU_DEP_4) | instskip(NEXT) | instid1(VALU_DEP_3)
	v_cmp_ne_u32_e32 vcc_lo, 0, v12
	v_dual_cndmask_b32 v3, v7, v3 :: v_dual_cndmask_b32 v6, v6, v2
	v_xor_b32_e32 v2, s14, v8
	s_delay_alu instid0(VALU_DEP_4) | instskip(NEXT) | instid1(VALU_DEP_1)
	v_cmp_ne_u32_e64 s2, 0, v9
	v_dual_cndmask_b32 v1, v1, v3, s2 :: v_dual_cndmask_b32 v0, v0, v6, s2
	s_delay_alu instid0(VALU_DEP_1) | instskip(NEXT) | instid1(VALU_DEP_2)
	v_dual_mov_b32 v3, v2 :: v_dual_bitop2_b32 v1, v1, v2 bitop3:0x14
	v_xor_b32_e32 v0, v0, v2
	s_delay_alu instid0(VALU_DEP_1)
	v_sub_nc_u64_e32 v[0:1], v[0:1], v[2:3]
.LBB2_3:
	s_and_not1_saveexec_b32 s2, s3
	s_cbranch_execz .LBB2_5
; %bb.4:
	v_cvt_f32_u32_e32 v0, s12
	s_sub_co_i32 s3, 0, s12
	s_delay_alu instid0(VALU_DEP_1) | instskip(SKIP_1) | instid1(TRANS32_DEP_1)
	v_rcp_iflag_f32_e32 v0, v0
	v_nop
	v_mul_f32_e32 v0, 0x4f7ffffe, v0
	s_delay_alu instid0(VALU_DEP_1) | instskip(NEXT) | instid1(VALU_DEP_1)
	v_cvt_u32_f32_e32 v0, v0
	v_mul_lo_u32 v1, s3, v0
	s_delay_alu instid0(VALU_DEP_1) | instskip(NEXT) | instid1(VALU_DEP_1)
	v_mul_hi_u32 v1, v0, v1
	v_add_nc_u32_e32 v0, v0, v1
	s_delay_alu instid0(VALU_DEP_1) | instskip(NEXT) | instid1(VALU_DEP_1)
	v_mul_hi_u32 v0, v4, v0
	v_mul_lo_u32 v1, v0, s12
	s_delay_alu instid0(VALU_DEP_1) | instskip(NEXT) | instid1(VALU_DEP_1)
	v_dual_add_nc_u32 v2, 1, v0 :: v_dual_sub_nc_u32 v1, v4, v1
	v_subrev_nc_u32_e32 v3, s12, v1
	v_cmp_le_u32_e32 vcc_lo, s12, v1
	s_delay_alu instid0(VALU_DEP_2) | instskip(NEXT) | instid1(VALU_DEP_1)
	v_dual_cndmask_b32 v1, v1, v3 :: v_dual_cndmask_b32 v0, v0, v2
	v_cmp_le_u32_e32 vcc_lo, s12, v1
	s_delay_alu instid0(VALU_DEP_2) | instskip(NEXT) | instid1(VALU_DEP_1)
	v_dual_mov_b32 v1, 0 :: v_dual_add_nc_u32 v2, 1, v0
	v_cndmask_b32_e32 v0, v0, v2, vcc_lo
.LBB2_5:
	s_or_b32 exec_lo, exec_lo, s2
	s_delay_alu instid0(VALU_DEP_1) | instskip(SKIP_2) | instid1(VALU_DEP_2)
	v_mul_u64_e32 v[2:3], s[12:13], v[0:1]
	s_mov_b32 s2, exec_lo
	v_mov_b32_e32 v10, 0
	v_sub_nc_u64_e32 v[6:7], v[4:5], v[2:3]
                                        ; implicit-def: $vgpr2_vgpr3
	s_delay_alu instid0(VALU_DEP_1) | instskip(NEXT) | instid1(VALU_DEP_1)
	v_or_b32_e32 v11, s9, v7
	v_cmpx_ne_u64_e32 0, v[10:11]
	s_xor_b32 s3, exec_lo, s2
	s_cbranch_execz .LBB2_7
; %bb.6:
	s_ashr_i32 s12, s9, 31
	s_mov_b32 s27, 0
	s_mov_b32 s13, s12
	v_dual_mov_b32 v15, v10 :: v_dual_ashrrev_i32 v2, 31, v7
	s_add_nc_u64 s[14:15], s[8:9], s[12:13]
	v_dual_mov_b32 v23, v10 :: v_dual_mov_b32 v11, v10
	s_xor_b64 s[14:15], s[14:15], s[12:13]
	s_delay_alu instid0(VALU_DEP_2) | instskip(SKIP_3) | instid1(VALU_DEP_1)
	v_mov_b32_e32 v3, v2
	s_cvt_f32_u32 s2, s14
	s_cvt_f32_u32 s13, s15
	s_sub_nc_u64 s[22:23], 0, s[14:15]
	v_add_nc_u64_e32 v[12:13], v[6:7], v[2:3]
	s_delay_alu instid0(SALU_CYCLE_1) | instskip(SKIP_1) | instid1(SALU_CYCLE_2)
	s_fmamk_f32 s2, s13, 0x4f800000, s2
	v_mov_b32_e32 v17, v10
	v_s_rcp_f32 s2, s2
	s_delay_alu instid0(VALU_DEP_2) | instskip(NEXT) | instid1(VALU_DEP_3)
	v_xor_b32_e32 v14, v12, v2
	v_xor_b32_e32 v16, v13, v2
	;; [unrolled: 1-line block ×3, first 2 shown]
	s_delay_alu instid0(TRANS32_DEP_1) | instskip(NEXT) | instid1(SALU_CYCLE_3)
	s_mul_f32 s2, s2, 0x5f7ffffc
	s_mul_f32 s13, s2, 0x2f800000
	s_delay_alu instid0(SALU_CYCLE_3) | instskip(NEXT) | instid1(SALU_CYCLE_3)
	s_trunc_f32 s13, s13
	s_fmamk_f32 s2, s13, 0xcf800000, s2
	s_cvt_u32_f32 s21, s13
	s_delay_alu instid0(SALU_CYCLE_2) | instskip(NEXT) | instid1(SALU_CYCLE_3)
	s_cvt_u32_f32 s20, s2
	s_mul_u64 s[24:25], s[22:23], s[20:21]
	s_delay_alu instid0(SALU_CYCLE_1)
	s_mul_hi_u32 s29, s20, s25
	s_mul_i32 s28, s20, s25
	s_mul_hi_u32 s26, s20, s24
	s_mul_i32 s13, s21, s24
	s_add_nc_u64 s[28:29], s[26:27], s[28:29]
	s_mul_hi_u32 s2, s21, s24
	s_mul_hi_u32 s30, s21, s25
	s_add_co_u32 s13, s28, s13
	s_add_co_ci_u32 s26, s29, s2
	s_mul_i32 s24, s21, s25
	s_add_co_ci_u32 s25, s30, 0
	s_delay_alu instid0(SALU_CYCLE_1) | instskip(NEXT) | instid1(SALU_CYCLE_1)
	s_add_nc_u64 s[24:25], s[26:27], s[24:25]
	s_add_co_u32 s20, s20, s24
	s_cselect_b32 s2, -1, 0
	s_delay_alu instid0(SALU_CYCLE_1) | instskip(SKIP_1) | instid1(SALU_CYCLE_1)
	s_cmp_lg_u32 s2, 0
	s_add_co_ci_u32 s21, s21, s25
	s_mul_u64 s[22:23], s[22:23], s[20:21]
	s_delay_alu instid0(SALU_CYCLE_1)
	s_mul_hi_u32 s25, s20, s23
	s_mul_i32 s24, s20, s23
	s_mul_hi_u32 s26, s20, s22
	s_mul_i32 s13, s21, s22
	s_add_nc_u64 s[24:25], s[26:27], s[24:25]
	s_mul_hi_u32 s2, s21, s22
	s_mul_hi_u32 s28, s21, s23
	s_add_co_u32 s13, s24, s13
	s_add_co_ci_u32 s26, s25, s2
	s_mul_i32 s22, s21, s23
	s_add_co_ci_u32 s23, s28, 0
	s_delay_alu instid0(SALU_CYCLE_1) | instskip(NEXT) | instid1(SALU_CYCLE_1)
	s_add_nc_u64 s[22:23], s[26:27], s[22:23]
	s_add_co_u32 s2, s20, s22
	s_cselect_b32 s13, -1, 0
	v_mul_hi_u32 v22, v14, s2
	s_cmp_lg_u32 s13, 0
	s_add_co_ci_u32 s26, s21, s23
	s_mov_b64 s[20:21], 0xffffffff
	v_mul_u64_e32 v[18:19], s[26:27], v[14:15]
	s_and_b64 s[20:21], s[2:3], s[20:21]
	v_mul_u64_e32 v[20:21], s[26:27], v[16:17]
	v_mul_u64_e32 v[12:13], s[20:21], v[16:17]
	s_delay_alu instid0(VALU_DEP_3) | instskip(NEXT) | instid1(VALU_DEP_1)
	v_add_nc_u64_e32 v[18:19], v[22:23], v[18:19]
	v_add_co_u32 v3, vcc_lo, v18, v12
	s_delay_alu instid0(VALU_DEP_2) | instskip(SKIP_1) | instid1(VALU_DEP_1)
	v_add_co_ci_u32_e32 v10, vcc_lo, v19, v13, vcc_lo
	v_add_co_ci_u32_e32 v21, vcc_lo, 0, v21, vcc_lo
	v_add_nc_u64_e32 v[10:11], v[10:11], v[20:21]
	s_delay_alu instid0(VALU_DEP_1) | instskip(NEXT) | instid1(VALU_DEP_1)
	v_mul_u64_e32 v[12:13], s[14:15], v[10:11]
	v_sub_co_u32 v9, vcc_lo, v14, v12
	v_add_nc_u64_e32 v[14:15], 1, v[10:11]
	s_delay_alu instid0(VALU_DEP_3) | instskip(SKIP_1) | instid1(VALU_DEP_4)
	v_sub_nc_u32_e32 v3, v16, v13
	v_sub_co_ci_u32_e64 v16, null, v16, v13, vcc_lo
	v_sub_co_u32 v12, s2, v9, s14
	s_delay_alu instid0(VALU_DEP_3) | instskip(NEXT) | instid1(VALU_DEP_2)
	v_subrev_co_ci_u32_e64 v3, null, s15, v3, vcc_lo
	v_cmp_le_u32_e32 vcc_lo, s14, v12
	s_delay_alu instid0(VALU_DEP_2) | instskip(SKIP_1) | instid1(VALU_DEP_2)
	v_subrev_co_ci_u32_e64 v3, null, 0, v3, s2
	v_cndmask_b32_e64 v12, 0, -1, vcc_lo
	v_cmp_le_u32_e32 vcc_lo, s15, v3
	v_cndmask_b32_e64 v13, 0, -1, vcc_lo
	v_cmp_le_u32_e32 vcc_lo, s14, v9
	;; [unrolled: 2-line block ×3, first 2 shown]
	v_cndmask_b32_e64 v17, 0, -1, vcc_lo
	v_cmp_eq_u32_e32 vcc_lo, s15, v3
	v_cndmask_b32_e32 v3, v13, v12, vcc_lo
	v_cmp_eq_u32_e32 vcc_lo, s15, v16
	v_add_nc_u64_e32 v[12:13], 2, v[10:11]
	v_cndmask_b32_e32 v9, v17, v9, vcc_lo
	s_delay_alu instid0(VALU_DEP_4) | instskip(NEXT) | instid1(VALU_DEP_2)
	v_cmp_ne_u32_e32 vcc_lo, 0, v3
	v_cmp_ne_u32_e64 s2, 0, v9
	s_delay_alu instid0(VALU_DEP_4) | instskip(NEXT) | instid1(VALU_DEP_1)
	v_cndmask_b32_e32 v9, v14, v12, vcc_lo
	v_cndmask_b32_e64 v9, v10, v9, s2
	s_delay_alu instid0(VALU_DEP_1) | instskip(NEXT) | instid1(VALU_DEP_1)
	v_dual_cndmask_b32 v3, v15, v13, vcc_lo :: v_dual_bitop2_b32 v10, v9, v2 bitop3:0x14
	v_dual_cndmask_b32 v11, v11, v3, s2 :: v_dual_mov_b32 v3, v2
	s_delay_alu instid0(VALU_DEP_1) | instskip(NEXT) | instid1(VALU_DEP_1)
	v_xor_b32_e32 v11, v11, v2
	v_sub_nc_u64_e32 v[2:3], v[10:11], v[2:3]
.LBB2_7:
	s_and_not1_saveexec_b32 s2, s3
	s_cbranch_execz .LBB2_9
; %bb.8:
	v_cvt_f32_u32_e32 v2, s8
	s_sub_co_i32 s3, 0, s8
	s_delay_alu instid0(VALU_DEP_1) | instskip(SKIP_1) | instid1(TRANS32_DEP_1)
	v_rcp_iflag_f32_e32 v2, v2
	v_nop
	v_mul_f32_e32 v2, 0x4f7ffffe, v2
	s_delay_alu instid0(VALU_DEP_1) | instskip(NEXT) | instid1(VALU_DEP_1)
	v_cvt_u32_f32_e32 v2, v2
	v_mul_lo_u32 v3, s3, v2
	s_delay_alu instid0(VALU_DEP_1) | instskip(NEXT) | instid1(VALU_DEP_1)
	v_mul_hi_u32 v3, v2, v3
	v_add_nc_u32_e32 v2, v2, v3
	s_delay_alu instid0(VALU_DEP_1) | instskip(NEXT) | instid1(VALU_DEP_1)
	v_mul_hi_u32 v2, v6, v2
	v_mul_lo_u32 v3, v2, s8
	s_delay_alu instid0(VALU_DEP_1) | instskip(NEXT) | instid1(VALU_DEP_1)
	v_dual_add_nc_u32 v9, 1, v2 :: v_dual_sub_nc_u32 v3, v6, v3
	v_subrev_nc_u32_e32 v10, s8, v3
	v_cmp_le_u32_e32 vcc_lo, s8, v3
	s_delay_alu instid0(VALU_DEP_2) | instskip(NEXT) | instid1(VALU_DEP_1)
	v_dual_cndmask_b32 v3, v3, v10 :: v_dual_cndmask_b32 v2, v2, v9
	v_cmp_le_u32_e32 vcc_lo, s8, v3
	s_delay_alu instid0(VALU_DEP_2) | instskip(NEXT) | instid1(VALU_DEP_1)
	v_dual_add_nc_u32 v9, 1, v2 :: v_dual_mov_b32 v3, 0
	v_cndmask_b32_e32 v2, v2, v9, vcc_lo
.LBB2_9:
	s_or_b32 exec_lo, exec_lo, s2
	s_delay_alu instid0(VALU_DEP_1) | instskip(SKIP_2) | instid1(VALU_DEP_2)
	v_mul_u64_e32 v[10:11], s[8:9], v[2:3]
	s_mov_b32 s2, exec_lo
	v_mov_b32_e32 v12, 0
	v_sub_nc_u64_e32 v[6:7], v[6:7], v[10:11]
                                        ; implicit-def: $vgpr10_vgpr11
	s_delay_alu instid0(VALU_DEP_1) | instskip(NEXT) | instid1(VALU_DEP_1)
	v_or_b32_e32 v13, s11, v7
	v_cmpx_ne_u64_e32 0, v[12:13]
	s_xor_b32 s3, exec_lo, s2
	s_cbranch_execz .LBB2_11
; %bb.10:
	s_ashr_i32 s8, s11, 31
	s_mov_b32 s25, 0
	s_mov_b32 s9, s8
	v_dual_mov_b32 v17, v12 :: v_dual_ashrrev_i32 v10, 31, v7
	s_add_nc_u64 s[12:13], s[10:11], s[8:9]
	v_mov_b32_e32 v19, v12
	s_xor_b64 s[12:13], s[12:13], s[8:9]
	s_delay_alu instid0(VALU_DEP_2)
	v_mov_b32_e32 v11, v10
	s_cvt_f32_u32 s2, s12
	s_cvt_f32_u32 s9, s13
	s_sub_nc_u64 s[20:21], 0, s[12:13]
	v_mov_b32_e32 v25, v12
	v_add_nc_u64_e32 v[14:15], v[6:7], v[10:11]
	s_fmamk_f32 s2, s9, 0x4f800000, s2
	v_mov_b32_e32 v13, v12
	s_delay_alu instid0(SALU_CYCLE_2) | instskip(NEXT) | instid1(VALU_DEP_2)
	v_s_rcp_f32 s2, s2
	v_xor_b32_e32 v16, v14, v10
	s_delay_alu instid0(VALU_DEP_3) | instskip(SKIP_1) | instid1(TRANS32_DEP_1)
	v_xor_b32_e32 v18, v15, v10
	v_xor_b32_e32 v10, s8, v10
	s_mul_f32 s2, s2, 0x5f7ffffc
	s_delay_alu instid0(SALU_CYCLE_3) | instskip(NEXT) | instid1(SALU_CYCLE_3)
	s_mul_f32 s9, s2, 0x2f800000
	s_trunc_f32 s9, s9
	s_delay_alu instid0(SALU_CYCLE_3) | instskip(SKIP_1) | instid1(SALU_CYCLE_2)
	s_fmamk_f32 s2, s9, 0xcf800000, s2
	s_cvt_u32_f32 s15, s9
	s_cvt_u32_f32 s14, s2
	s_delay_alu instid0(SALU_CYCLE_3) | instskip(NEXT) | instid1(SALU_CYCLE_1)
	s_mul_u64 s[22:23], s[20:21], s[14:15]
	s_mul_hi_u32 s27, s14, s23
	s_mul_i32 s26, s14, s23
	s_mul_hi_u32 s24, s14, s22
	s_mul_i32 s9, s15, s22
	s_add_nc_u64 s[26:27], s[24:25], s[26:27]
	s_mul_hi_u32 s2, s15, s22
	s_mul_hi_u32 s28, s15, s23
	s_add_co_u32 s9, s26, s9
	s_add_co_ci_u32 s24, s27, s2
	s_mul_i32 s22, s15, s23
	s_add_co_ci_u32 s23, s28, 0
	s_delay_alu instid0(SALU_CYCLE_1) | instskip(NEXT) | instid1(SALU_CYCLE_1)
	s_add_nc_u64 s[22:23], s[24:25], s[22:23]
	s_add_co_u32 s14, s14, s22
	s_cselect_b32 s2, -1, 0
	s_delay_alu instid0(SALU_CYCLE_1) | instskip(SKIP_1) | instid1(SALU_CYCLE_1)
	s_cmp_lg_u32 s2, 0
	s_add_co_ci_u32 s15, s15, s23
	s_mul_u64 s[20:21], s[20:21], s[14:15]
	s_delay_alu instid0(SALU_CYCLE_1)
	s_mul_hi_u32 s23, s14, s21
	s_mul_i32 s22, s14, s21
	s_mul_hi_u32 s24, s14, s20
	s_mul_i32 s9, s15, s20
	s_add_nc_u64 s[22:23], s[24:25], s[22:23]
	s_mul_hi_u32 s2, s15, s20
	s_mul_hi_u32 s26, s15, s21
	s_add_co_u32 s9, s22, s9
	s_add_co_ci_u32 s24, s23, s2
	s_mul_i32 s20, s15, s21
	s_add_co_ci_u32 s21, s26, 0
	s_delay_alu instid0(SALU_CYCLE_1) | instskip(NEXT) | instid1(SALU_CYCLE_1)
	s_add_nc_u64 s[20:21], s[24:25], s[20:21]
	s_add_co_u32 s2, s14, s20
	s_cselect_b32 s9, -1, 0
	v_mul_hi_u32 v24, v16, s2
	s_cmp_lg_u32 s9, 0
	s_add_co_ci_u32 s24, s15, s21
	s_mov_b64 s[14:15], 0xffffffff
	v_mul_u64_e32 v[20:21], s[24:25], v[16:17]
	s_and_b64 s[14:15], s[2:3], s[14:15]
	v_mul_u64_e32 v[22:23], s[24:25], v[18:19]
	v_mul_u64_e32 v[14:15], s[14:15], v[18:19]
	s_delay_alu instid0(VALU_DEP_3) | instskip(NEXT) | instid1(VALU_DEP_1)
	v_add_nc_u64_e32 v[20:21], v[24:25], v[20:21]
	v_add_co_u32 v9, vcc_lo, v20, v14
	s_delay_alu instid0(VALU_DEP_2) | instskip(SKIP_1) | instid1(VALU_DEP_1)
	v_add_co_ci_u32_e32 v12, vcc_lo, v21, v15, vcc_lo
	v_add_co_ci_u32_e32 v23, vcc_lo, 0, v23, vcc_lo
	v_add_nc_u64_e32 v[12:13], v[12:13], v[22:23]
	s_delay_alu instid0(VALU_DEP_1) | instskip(NEXT) | instid1(VALU_DEP_1)
	v_mul_u64_e32 v[14:15], s[12:13], v[12:13]
	v_sub_co_u32 v11, vcc_lo, v16, v14
	v_add_nc_u64_e32 v[16:17], 1, v[12:13]
	s_delay_alu instid0(VALU_DEP_3) | instskip(SKIP_1) | instid1(VALU_DEP_4)
	v_sub_nc_u32_e32 v9, v18, v15
	v_sub_co_ci_u32_e64 v18, null, v18, v15, vcc_lo
	v_sub_co_u32 v14, s2, v11, s12
	s_delay_alu instid0(VALU_DEP_3) | instskip(NEXT) | instid1(VALU_DEP_2)
	v_subrev_co_ci_u32_e64 v9, null, s13, v9, vcc_lo
	v_cmp_le_u32_e32 vcc_lo, s12, v14
	s_delay_alu instid0(VALU_DEP_2) | instskip(SKIP_1) | instid1(VALU_DEP_2)
	v_subrev_co_ci_u32_e64 v9, null, 0, v9, s2
	v_cndmask_b32_e64 v14, 0, -1, vcc_lo
	v_cmp_le_u32_e32 vcc_lo, s13, v9
	v_cndmask_b32_e64 v15, 0, -1, vcc_lo
	v_cmp_le_u32_e32 vcc_lo, s12, v11
	;; [unrolled: 2-line block ×3, first 2 shown]
	v_cndmask_b32_e64 v19, 0, -1, vcc_lo
	v_cmp_eq_u32_e32 vcc_lo, s13, v9
	v_cndmask_b32_e32 v9, v15, v14, vcc_lo
	v_cmp_eq_u32_e32 vcc_lo, s13, v18
	v_add_nc_u64_e32 v[14:15], 2, v[12:13]
	v_cndmask_b32_e32 v11, v19, v11, vcc_lo
	s_delay_alu instid0(VALU_DEP_4) | instskip(NEXT) | instid1(VALU_DEP_2)
	v_cmp_ne_u32_e32 vcc_lo, 0, v9
	v_cmp_ne_u32_e64 s2, 0, v11
	s_delay_alu instid0(VALU_DEP_4) | instskip(NEXT) | instid1(VALU_DEP_1)
	v_dual_cndmask_b32 v9, v17, v15, vcc_lo :: v_dual_cndmask_b32 v11, v16, v14, vcc_lo
	v_dual_cndmask_b32 v12, v12, v11, s2 :: v_dual_mov_b32 v11, v10
	s_delay_alu instid0(VALU_DEP_1) | instskip(NEXT) | instid1(VALU_DEP_1)
	v_dual_cndmask_b32 v9, v13, v9, s2 :: v_dual_bitop2_b32 v12, v12, v10 bitop3:0x14
	v_xor_b32_e32 v13, v9, v10
	s_delay_alu instid0(VALU_DEP_1)
	v_sub_nc_u64_e32 v[10:11], v[12:13], v[10:11]
.LBB2_11:
	s_and_not1_saveexec_b32 s2, s3
	s_cbranch_execz .LBB2_13
; %bb.12:
	v_cvt_f32_u32_e32 v9, s10
	s_sub_co_i32 s3, 0, s10
	s_delay_alu instid0(VALU_DEP_1) | instskip(SKIP_1) | instid1(TRANS32_DEP_1)
	v_rcp_iflag_f32_e32 v9, v9
	v_nop
	v_mul_f32_e32 v9, 0x4f7ffffe, v9
	s_delay_alu instid0(VALU_DEP_1) | instskip(NEXT) | instid1(VALU_DEP_1)
	v_cvt_u32_f32_e32 v9, v9
	v_mul_lo_u32 v10, s3, v9
	s_delay_alu instid0(VALU_DEP_1) | instskip(NEXT) | instid1(VALU_DEP_1)
	v_mul_hi_u32 v10, v9, v10
	v_add_nc_u32_e32 v9, v9, v10
	s_delay_alu instid0(VALU_DEP_1) | instskip(NEXT) | instid1(VALU_DEP_1)
	v_mul_hi_u32 v9, v6, v9
	v_mul_lo_u32 v10, v9, s10
	s_delay_alu instid0(VALU_DEP_1) | instskip(NEXT) | instid1(VALU_DEP_1)
	v_dual_add_nc_u32 v11, 1, v9 :: v_dual_sub_nc_u32 v10, v6, v10
	v_subrev_nc_u32_e32 v12, s10, v10
	v_cmp_le_u32_e32 vcc_lo, s10, v10
	s_delay_alu instid0(VALU_DEP_2) | instskip(NEXT) | instid1(VALU_DEP_1)
	v_dual_cndmask_b32 v10, v10, v12 :: v_dual_cndmask_b32 v9, v9, v11
	v_cmp_le_u32_e32 vcc_lo, s10, v10
	s_delay_alu instid0(VALU_DEP_2) | instskip(NEXT) | instid1(VALU_DEP_1)
	v_add_nc_u32_e32 v11, 1, v9
	v_dual_cndmask_b32 v10, v9, v11 :: v_dual_mov_b32 v11, 0
.LBB2_13:
	s_or_b32 exec_lo, exec_lo, s2
	s_load_b512 s[36:51], s[0:1], 0x40
                                        ; implicit-def: $vgpr32_vgpr33
	s_mov_b32 s2, exec_lo
	v_mov_b32_e32 v12, 0
	s_wait_kmcnt 0x0
	s_mul_u64 s[8:9], s[42:43], s[40:41]
	s_delay_alu instid0(SALU_CYCLE_1) | instskip(NEXT) | instid1(SALU_CYCLE_1)
	s_mul_u64 s[12:13], s[8:9], s[44:45]
	v_or_b32_e32 v13, s13, v5
	s_delay_alu instid0(VALU_DEP_1)
	v_cmpx_ne_u64_e32 0, v[12:13]
	s_xor_b32 s3, exec_lo, s2
	s_cbranch_execz .LBB2_15
; %bb.14:
	s_ashr_i32 s14, s13, 31
	s_mov_b32 s29, 0
	s_mov_b32 s15, s14
	v_dual_mov_b32 v9, v8 :: v_dual_mov_b32 v17, v12
	s_add_nc_u64 s[20:21], s[12:13], s[14:15]
	v_mov_b32_e32 v19, v12
	s_xor_b64 s[20:21], s[20:21], s[14:15]
	s_delay_alu instid0(VALU_DEP_2) | instskip(SKIP_4) | instid1(SALU_CYCLE_1)
	v_add_nc_u64_e32 v[14:15], v[4:5], v[8:9]
	s_cvt_f32_u32 s2, s20
	s_cvt_f32_u32 s15, s21
	s_sub_nc_u64 s[24:25], 0, s[20:21]
	v_mov_b32_e32 v25, v12
	s_fmamk_f32 s2, s15, 0x4f800000, s2
	s_delay_alu instid0(VALU_DEP_2) | instskip(SKIP_1) | instid1(SALU_CYCLE_1)
	v_xor_b32_e32 v16, v14, v8
	v_dual_mov_b32 v13, v12 :: v_dual_bitop2_b32 v18, v15, v8 bitop3:0x14
	v_s_rcp_f32 s2, s2
	v_xor_b32_e32 v8, s14, v8
	s_delay_alu instid0(TRANS32_DEP_1) | instskip(NEXT) | instid1(SALU_CYCLE_3)
	s_mul_f32 s2, s2, 0x5f7ffffc
	s_mul_f32 s15, s2, 0x2f800000
	s_delay_alu instid0(SALU_CYCLE_3) | instskip(NEXT) | instid1(SALU_CYCLE_3)
	s_trunc_f32 s15, s15
	s_fmamk_f32 s2, s15, 0xcf800000, s2
	s_cvt_u32_f32 s23, s15
	s_delay_alu instid0(SALU_CYCLE_2) | instskip(NEXT) | instid1(SALU_CYCLE_3)
	s_cvt_u32_f32 s22, s2
	s_mul_u64 s[26:27], s[24:25], s[22:23]
	s_delay_alu instid0(SALU_CYCLE_1)
	s_mul_hi_u32 s31, s22, s27
	s_mul_i32 s30, s22, s27
	s_mul_hi_u32 s28, s22, s26
	s_mul_i32 s15, s23, s26
	s_add_nc_u64 s[30:31], s[28:29], s[30:31]
	s_mul_hi_u32 s2, s23, s26
	s_mul_hi_u32 s33, s23, s27
	s_add_co_u32 s15, s30, s15
	s_add_co_ci_u32 s28, s31, s2
	s_mul_i32 s26, s23, s27
	s_add_co_ci_u32 s27, s33, 0
	s_delay_alu instid0(SALU_CYCLE_1) | instskip(NEXT) | instid1(SALU_CYCLE_1)
	s_add_nc_u64 s[26:27], s[28:29], s[26:27]
	s_add_co_u32 s22, s22, s26
	s_cselect_b32 s2, -1, 0
	s_delay_alu instid0(SALU_CYCLE_1) | instskip(SKIP_1) | instid1(SALU_CYCLE_1)
	s_cmp_lg_u32 s2, 0
	s_add_co_ci_u32 s23, s23, s27
	s_mul_u64 s[24:25], s[24:25], s[22:23]
	s_delay_alu instid0(SALU_CYCLE_1)
	s_mul_hi_u32 s27, s22, s25
	s_mul_i32 s26, s22, s25
	s_mul_hi_u32 s28, s22, s24
	s_mul_i32 s15, s23, s24
	s_add_nc_u64 s[26:27], s[28:29], s[26:27]
	s_mul_hi_u32 s2, s23, s24
	s_mul_hi_u32 s30, s23, s25
	s_add_co_u32 s15, s26, s15
	s_add_co_ci_u32 s28, s27, s2
	s_mul_i32 s24, s23, s25
	s_add_co_ci_u32 s25, s30, 0
	s_delay_alu instid0(SALU_CYCLE_1) | instskip(NEXT) | instid1(SALU_CYCLE_1)
	s_add_nc_u64 s[24:25], s[28:29], s[24:25]
	s_add_co_u32 s2, s22, s24
	s_cselect_b32 s15, -1, 0
	v_mul_hi_u32 v24, v16, s2
	s_cmp_lg_u32 s15, 0
	s_add_co_ci_u32 s28, s23, s25
	s_mov_b64 s[22:23], 0xffffffff
	v_mul_u64_e32 v[20:21], s[28:29], v[16:17]
	s_and_b64 s[22:23], s[2:3], s[22:23]
	v_mul_u64_e32 v[22:23], s[28:29], v[18:19]
	v_mul_u64_e32 v[14:15], s[22:23], v[18:19]
	s_delay_alu instid0(VALU_DEP_3) | instskip(NEXT) | instid1(VALU_DEP_1)
	v_add_nc_u64_e32 v[20:21], v[24:25], v[20:21]
	v_add_co_u32 v9, vcc_lo, v20, v14
	s_delay_alu instid0(VALU_DEP_2) | instskip(SKIP_1) | instid1(VALU_DEP_1)
	v_add_co_ci_u32_e32 v12, vcc_lo, v21, v15, vcc_lo
	v_add_co_ci_u32_e32 v23, vcc_lo, 0, v23, vcc_lo
	v_add_nc_u64_e32 v[12:13], v[12:13], v[22:23]
	s_delay_alu instid0(VALU_DEP_1) | instskip(NEXT) | instid1(VALU_DEP_1)
	v_mul_u64_e32 v[14:15], s[20:21], v[12:13]
	v_sub_nc_u32_e32 v9, v18, v15
	s_delay_alu instid0(VALU_DEP_2) | instskip(NEXT) | instid1(VALU_DEP_1)
	v_sub_co_u32 v14, vcc_lo, v16, v14
	v_sub_co_ci_u32_e64 v18, null, v18, v15, vcc_lo
	s_delay_alu instid0(VALU_DEP_3) | instskip(NEXT) | instid1(VALU_DEP_3)
	v_subrev_co_ci_u32_e64 v9, null, s21, v9, vcc_lo
	v_sub_co_u32 v16, s2, v14, s20
	s_delay_alu instid0(VALU_DEP_1) | instskip(NEXT) | instid1(VALU_DEP_2)
	v_subrev_co_ci_u32_e64 v9, null, 0, v9, s2
	v_cmp_le_u32_e32 vcc_lo, s20, v16
	v_cndmask_b32_e64 v15, 0, -1, vcc_lo
	s_delay_alu instid0(VALU_DEP_3)
	v_cmp_le_u32_e32 vcc_lo, s21, v9
	v_cndmask_b32_e64 v16, 0, -1, vcc_lo
	v_cmp_le_u32_e32 vcc_lo, s20, v14
	v_cndmask_b32_e64 v19, 0, -1, vcc_lo
	;; [unrolled: 2-line block ×3, first 2 shown]
	v_cmp_eq_u32_e32 vcc_lo, s21, v9
	v_cndmask_b32_e32 v9, v16, v15, vcc_lo
	v_cmp_eq_u32_e32 vcc_lo, s21, v18
	v_add_nc_u64_e32 v[14:15], 2, v[12:13]
	v_add_nc_u64_e32 v[16:17], 1, v[12:13]
	v_cndmask_b32_e32 v18, v20, v19, vcc_lo
	v_cmp_ne_u32_e32 vcc_lo, 0, v9
	s_delay_alu instid0(VALU_DEP_2) | instskip(NEXT) | instid1(VALU_DEP_4)
	v_cmp_ne_u32_e64 s2, 0, v18
	v_dual_cndmask_b32 v14, v16, v14 :: v_dual_cndmask_b32 v9, v17, v15
	s_delay_alu instid0(VALU_DEP_1) | instskip(SKIP_1) | instid1(VALU_DEP_2)
	v_dual_cndmask_b32 v12, v12, v14, s2 :: v_dual_cndmask_b32 v13, v13, v9, s2
	v_mov_b32_e32 v9, v8
	v_xor_b32_e32 v12, v12, v8
	s_delay_alu instid0(VALU_DEP_3) | instskip(NEXT) | instid1(VALU_DEP_1)
	v_xor_b32_e32 v13, v13, v8
	v_sub_nc_u64_e32 v[32:33], v[12:13], v[8:9]
.LBB2_15:
	s_and_not1_saveexec_b32 s2, s3
	s_cbranch_execz .LBB2_17
; %bb.16:
	v_cvt_f32_u32_e32 v8, s12
	s_sub_co_i32 s3, 0, s12
	v_mov_b32_e32 v33, 0
	s_delay_alu instid0(VALU_DEP_2) | instskip(SKIP_1) | instid1(TRANS32_DEP_1)
	v_rcp_iflag_f32_e32 v8, v8
	v_nop
	v_mul_f32_e32 v8, 0x4f7ffffe, v8
	s_delay_alu instid0(VALU_DEP_1) | instskip(NEXT) | instid1(VALU_DEP_1)
	v_cvt_u32_f32_e32 v8, v8
	v_mul_lo_u32 v9, s3, v8
	s_delay_alu instid0(VALU_DEP_1) | instskip(NEXT) | instid1(VALU_DEP_1)
	v_mul_hi_u32 v9, v8, v9
	v_add_nc_u32_e32 v8, v8, v9
	s_delay_alu instid0(VALU_DEP_1) | instskip(NEXT) | instid1(VALU_DEP_1)
	v_mul_hi_u32 v8, v4, v8
	v_mul_lo_u32 v9, v8, s12
	s_delay_alu instid0(VALU_DEP_1) | instskip(NEXT) | instid1(VALU_DEP_1)
	v_sub_nc_u32_e32 v9, v4, v9
	v_subrev_nc_u32_e32 v13, s12, v9
	v_cmp_le_u32_e32 vcc_lo, s12, v9
	s_delay_alu instid0(VALU_DEP_2) | instskip(NEXT) | instid1(VALU_DEP_1)
	v_dual_cndmask_b32 v9, v9, v13 :: v_dual_add_nc_u32 v12, 1, v8
	v_cndmask_b32_e32 v8, v8, v12, vcc_lo
	s_delay_alu instid0(VALU_DEP_2) | instskip(NEXT) | instid1(VALU_DEP_2)
	v_cmp_le_u32_e32 vcc_lo, s12, v9
	v_add_nc_u32_e32 v12, 1, v8
	s_delay_alu instid0(VALU_DEP_1)
	v_cndmask_b32_e32 v32, v8, v12, vcc_lo
.LBB2_17:
	s_or_b32 exec_lo, exec_lo, s2
	s_delay_alu instid0(VALU_DEP_1) | instskip(SKIP_1) | instid1(VALU_DEP_1)
	v_mul_u64_e32 v[8:9], s[12:13], v[32:33]
                                        ; implicit-def: $vgpr34_vgpr35
	s_mov_b32 s2, exec_lo
	v_sub_nc_u64_e32 v[4:5], v[4:5], v[8:9]
	s_delay_alu instid0(VALU_DEP_1) | instskip(NEXT) | instid1(VALU_DEP_1)
	v_dual_mov_b32 v8, 0 :: v_dual_bitop2_b32 v9, s9, v5 bitop3:0x54
	v_cmpx_ne_u64_e32 0, v[8:9]
	s_xor_b32 s3, exec_lo, s2
	s_cbranch_execz .LBB2_19
; %bb.18:
	s_ashr_i32 s12, s9, 31
	s_mov_b32 s27, 0
	s_mov_b32 s13, s12
	v_dual_mov_b32 v17, v8 :: v_dual_ashrrev_i32 v12, 31, v5
	s_add_nc_u64 s[14:15], s[8:9], s[12:13]
	v_dual_mov_b32 v25, v8 :: v_dual_mov_b32 v9, v8
	s_xor_b64 s[14:15], s[14:15], s[12:13]
	s_delay_alu instid0(VALU_DEP_2) | instskip(SKIP_3) | instid1(VALU_DEP_1)
	v_mov_b32_e32 v13, v12
	s_cvt_f32_u32 s2, s14
	s_cvt_f32_u32 s13, s15
	s_sub_nc_u64 s[22:23], 0, s[14:15]
	v_add_nc_u64_e32 v[14:15], v[4:5], v[12:13]
	s_delay_alu instid0(SALU_CYCLE_1) | instskip(SKIP_1) | instid1(SALU_CYCLE_2)
	s_fmamk_f32 s2, s13, 0x4f800000, s2
	v_mov_b32_e32 v19, v8
	v_s_rcp_f32 s2, s2
	s_delay_alu instid0(VALU_DEP_2) | instskip(NEXT) | instid1(VALU_DEP_3)
	v_xor_b32_e32 v16, v14, v12
	v_xor_b32_e32 v18, v15, v12
	;; [unrolled: 1-line block ×3, first 2 shown]
	s_delay_alu instid0(TRANS32_DEP_1) | instskip(NEXT) | instid1(SALU_CYCLE_3)
	s_mul_f32 s2, s2, 0x5f7ffffc
	s_mul_f32 s13, s2, 0x2f800000
	s_delay_alu instid0(SALU_CYCLE_3) | instskip(NEXT) | instid1(SALU_CYCLE_3)
	s_trunc_f32 s13, s13
	s_fmamk_f32 s2, s13, 0xcf800000, s2
	s_cvt_u32_f32 s21, s13
	s_delay_alu instid0(SALU_CYCLE_2) | instskip(NEXT) | instid1(SALU_CYCLE_3)
	s_cvt_u32_f32 s20, s2
	s_mul_u64 s[24:25], s[22:23], s[20:21]
	s_delay_alu instid0(SALU_CYCLE_1)
	s_mul_hi_u32 s29, s20, s25
	s_mul_i32 s28, s20, s25
	s_mul_hi_u32 s26, s20, s24
	s_mul_i32 s13, s21, s24
	s_add_nc_u64 s[28:29], s[26:27], s[28:29]
	s_mul_hi_u32 s2, s21, s24
	s_mul_hi_u32 s30, s21, s25
	s_add_co_u32 s13, s28, s13
	s_add_co_ci_u32 s26, s29, s2
	s_mul_i32 s24, s21, s25
	s_add_co_ci_u32 s25, s30, 0
	s_delay_alu instid0(SALU_CYCLE_1) | instskip(NEXT) | instid1(SALU_CYCLE_1)
	s_add_nc_u64 s[24:25], s[26:27], s[24:25]
	s_add_co_u32 s20, s20, s24
	s_cselect_b32 s2, -1, 0
	s_delay_alu instid0(SALU_CYCLE_1) | instskip(SKIP_1) | instid1(SALU_CYCLE_1)
	s_cmp_lg_u32 s2, 0
	s_add_co_ci_u32 s21, s21, s25
	s_mul_u64 s[22:23], s[22:23], s[20:21]
	s_delay_alu instid0(SALU_CYCLE_1)
	s_mul_hi_u32 s25, s20, s23
	s_mul_i32 s24, s20, s23
	s_mul_hi_u32 s26, s20, s22
	s_mul_i32 s13, s21, s22
	s_add_nc_u64 s[24:25], s[26:27], s[24:25]
	s_mul_hi_u32 s2, s21, s22
	s_mul_hi_u32 s28, s21, s23
	s_add_co_u32 s13, s24, s13
	s_add_co_ci_u32 s26, s25, s2
	s_mul_i32 s22, s21, s23
	s_add_co_ci_u32 s23, s28, 0
	s_delay_alu instid0(SALU_CYCLE_1) | instskip(NEXT) | instid1(SALU_CYCLE_1)
	s_add_nc_u64 s[22:23], s[26:27], s[22:23]
	s_add_co_u32 s2, s20, s22
	s_cselect_b32 s13, -1, 0
	v_mul_hi_u32 v24, v16, s2
	s_cmp_lg_u32 s13, 0
	s_add_co_ci_u32 s26, s21, s23
	s_mov_b64 s[20:21], 0xffffffff
	v_mul_u64_e32 v[20:21], s[26:27], v[16:17]
	s_and_b64 s[20:21], s[2:3], s[20:21]
	v_mul_u64_e32 v[22:23], s[26:27], v[18:19]
	v_mul_u64_e32 v[14:15], s[20:21], v[18:19]
	s_delay_alu instid0(VALU_DEP_3) | instskip(NEXT) | instid1(VALU_DEP_1)
	v_add_nc_u64_e32 v[20:21], v[24:25], v[20:21]
	v_add_co_u32 v8, vcc_lo, v20, v14
	s_delay_alu instid0(VALU_DEP_2) | instskip(SKIP_1) | instid1(VALU_DEP_1)
	v_add_co_ci_u32_e32 v8, vcc_lo, v21, v15, vcc_lo
	v_add_co_ci_u32_e32 v23, vcc_lo, 0, v23, vcc_lo
	v_add_nc_u64_e32 v[8:9], v[8:9], v[22:23]
	s_delay_alu instid0(VALU_DEP_1) | instskip(NEXT) | instid1(VALU_DEP_1)
	v_mul_u64_e32 v[14:15], s[14:15], v[8:9]
	v_sub_nc_u32_e32 v13, v18, v15
	s_delay_alu instid0(VALU_DEP_2) | instskip(NEXT) | instid1(VALU_DEP_1)
	v_sub_co_u32 v14, vcc_lo, v16, v14
	v_sub_co_ci_u32_e64 v18, null, v18, v15, vcc_lo
	s_delay_alu instid0(VALU_DEP_3) | instskip(NEXT) | instid1(VALU_DEP_3)
	v_subrev_co_ci_u32_e64 v13, null, s15, v13, vcc_lo
	v_sub_co_u32 v16, s2, v14, s14
	s_delay_alu instid0(VALU_DEP_1) | instskip(NEXT) | instid1(VALU_DEP_2)
	v_subrev_co_ci_u32_e64 v13, null, 0, v13, s2
	v_cmp_le_u32_e32 vcc_lo, s14, v16
	v_cndmask_b32_e64 v15, 0, -1, vcc_lo
	s_delay_alu instid0(VALU_DEP_3)
	v_cmp_le_u32_e32 vcc_lo, s15, v13
	v_cndmask_b32_e64 v16, 0, -1, vcc_lo
	v_cmp_le_u32_e32 vcc_lo, s14, v14
	v_cndmask_b32_e64 v19, 0, -1, vcc_lo
	;; [unrolled: 2-line block ×3, first 2 shown]
	v_cmp_eq_u32_e32 vcc_lo, s15, v13
	v_cndmask_b32_e32 v13, v16, v15, vcc_lo
	v_cmp_eq_u32_e32 vcc_lo, s15, v18
	v_add_nc_u64_e32 v[14:15], 2, v[8:9]
	v_add_nc_u64_e32 v[16:17], 1, v[8:9]
	v_cndmask_b32_e32 v18, v20, v19, vcc_lo
	v_cmp_ne_u32_e32 vcc_lo, 0, v13
	s_delay_alu instid0(VALU_DEP_2) | instskip(NEXT) | instid1(VALU_DEP_4)
	v_cmp_ne_u32_e64 s2, 0, v18
	v_dual_cndmask_b32 v14, v16, v14 :: v_dual_cndmask_b32 v13, v17, v15
	s_delay_alu instid0(VALU_DEP_1) | instskip(SKIP_1) | instid1(VALU_DEP_2)
	v_dual_cndmask_b32 v8, v8, v14, s2 :: v_dual_cndmask_b32 v9, v9, v13, s2
	v_mov_b32_e32 v13, v12
	v_xor_b32_e32 v8, v8, v12
	s_delay_alu instid0(VALU_DEP_3) | instskip(NEXT) | instid1(VALU_DEP_1)
	v_xor_b32_e32 v9, v9, v12
	v_sub_nc_u64_e32 v[34:35], v[8:9], v[12:13]
.LBB2_19:
	s_and_not1_saveexec_b32 s2, s3
	s_cbranch_execz .LBB2_21
; %bb.20:
	v_cvt_f32_u32_e32 v8, s8
	s_sub_co_i32 s3, 0, s8
	v_mov_b32_e32 v35, 0
	s_delay_alu instid0(VALU_DEP_2) | instskip(SKIP_1) | instid1(TRANS32_DEP_1)
	v_rcp_iflag_f32_e32 v8, v8
	v_nop
	v_mul_f32_e32 v8, 0x4f7ffffe, v8
	s_delay_alu instid0(VALU_DEP_1) | instskip(NEXT) | instid1(VALU_DEP_1)
	v_cvt_u32_f32_e32 v8, v8
	v_mul_lo_u32 v9, s3, v8
	s_delay_alu instid0(VALU_DEP_1) | instskip(NEXT) | instid1(VALU_DEP_1)
	v_mul_hi_u32 v9, v8, v9
	v_add_nc_u32_e32 v8, v8, v9
	s_delay_alu instid0(VALU_DEP_1) | instskip(NEXT) | instid1(VALU_DEP_1)
	v_mul_hi_u32 v8, v4, v8
	v_mul_lo_u32 v9, v8, s8
	s_delay_alu instid0(VALU_DEP_1) | instskip(NEXT) | instid1(VALU_DEP_1)
	v_sub_nc_u32_e32 v9, v4, v9
	v_subrev_nc_u32_e32 v13, s8, v9
	v_cmp_le_u32_e32 vcc_lo, s8, v9
	s_delay_alu instid0(VALU_DEP_2) | instskip(NEXT) | instid1(VALU_DEP_1)
	v_dual_cndmask_b32 v9, v9, v13 :: v_dual_add_nc_u32 v12, 1, v8
	v_cndmask_b32_e32 v8, v8, v12, vcc_lo
	s_delay_alu instid0(VALU_DEP_2) | instskip(NEXT) | instid1(VALU_DEP_2)
	v_cmp_le_u32_e32 vcc_lo, s8, v9
	v_add_nc_u32_e32 v12, 1, v8
	s_delay_alu instid0(VALU_DEP_1)
	v_cndmask_b32_e32 v34, v8, v12, vcc_lo
.LBB2_21:
	s_or_b32 exec_lo, exec_lo, s2
	s_delay_alu instid0(VALU_DEP_1) | instskip(SKIP_1) | instid1(VALU_DEP_1)
	v_mul_u64_e32 v[8:9], s[8:9], v[34:35]
                                        ; implicit-def: $vgpr38_vgpr39
	s_mov_b32 s2, exec_lo
	v_sub_nc_u64_e32 v[36:37], v[4:5], v[8:9]
	s_delay_alu instid0(VALU_DEP_1) | instskip(NEXT) | instid1(VALU_DEP_1)
	v_dual_mov_b32 v4, 0 :: v_dual_bitop2_b32 v5, s41, v37 bitop3:0x54
	v_cmpx_ne_u64_e32 0, v[4:5]
	s_xor_b32 s3, exec_lo, s2
	s_cbranch_execz .LBB2_23
; %bb.22:
	s_ashr_i32 s8, s41, 31
	s_mov_b32 s25, 0
	s_mov_b32 s9, s8
	v_dual_mov_b32 v15, v4 :: v_dual_ashrrev_i32 v8, 31, v37
	s_add_nc_u64 s[12:13], s[40:41], s[8:9]
	v_mov_b32_e32 v17, v4
	s_xor_b64 s[12:13], s[12:13], s[8:9]
	s_delay_alu instid0(VALU_DEP_2)
	v_mov_b32_e32 v9, v8
	s_cvt_f32_u32 s2, s12
	s_cvt_f32_u32 s9, s13
	s_sub_nc_u64 s[20:21], 0, s[12:13]
	v_mov_b32_e32 v5, v4
	v_add_nc_u64_e32 v[12:13], v[36:37], v[8:9]
	s_fmamk_f32 s2, s9, 0x4f800000, s2
	v_mov_b32_e32 v23, v4
	s_delay_alu instid0(SALU_CYCLE_2) | instskip(NEXT) | instid1(VALU_DEP_2)
	v_s_rcp_f32 s2, s2
	v_xor_b32_e32 v14, v12, v8
	s_delay_alu instid0(VALU_DEP_3) | instskip(SKIP_1) | instid1(TRANS32_DEP_1)
	v_xor_b32_e32 v16, v13, v8
	v_xor_b32_e32 v8, s8, v8
	s_mul_f32 s2, s2, 0x5f7ffffc
	s_delay_alu instid0(SALU_CYCLE_3) | instskip(NEXT) | instid1(SALU_CYCLE_3)
	s_mul_f32 s9, s2, 0x2f800000
	s_trunc_f32 s9, s9
	s_delay_alu instid0(SALU_CYCLE_3) | instskip(SKIP_1) | instid1(SALU_CYCLE_2)
	s_fmamk_f32 s2, s9, 0xcf800000, s2
	s_cvt_u32_f32 s15, s9
	s_cvt_u32_f32 s14, s2
	s_delay_alu instid0(SALU_CYCLE_3) | instskip(NEXT) | instid1(SALU_CYCLE_1)
	s_mul_u64 s[22:23], s[20:21], s[14:15]
	s_mul_hi_u32 s27, s14, s23
	s_mul_i32 s26, s14, s23
	s_mul_hi_u32 s24, s14, s22
	s_mul_i32 s9, s15, s22
	s_add_nc_u64 s[26:27], s[24:25], s[26:27]
	s_mul_hi_u32 s2, s15, s22
	s_mul_hi_u32 s28, s15, s23
	s_add_co_u32 s9, s26, s9
	s_add_co_ci_u32 s24, s27, s2
	s_mul_i32 s22, s15, s23
	s_add_co_ci_u32 s23, s28, 0
	s_delay_alu instid0(SALU_CYCLE_1) | instskip(NEXT) | instid1(SALU_CYCLE_1)
	s_add_nc_u64 s[22:23], s[24:25], s[22:23]
	s_add_co_u32 s14, s14, s22
	s_cselect_b32 s2, -1, 0
	s_delay_alu instid0(SALU_CYCLE_1) | instskip(SKIP_1) | instid1(SALU_CYCLE_1)
	s_cmp_lg_u32 s2, 0
	s_add_co_ci_u32 s15, s15, s23
	s_mul_u64 s[20:21], s[20:21], s[14:15]
	s_delay_alu instid0(SALU_CYCLE_1)
	s_mul_hi_u32 s23, s14, s21
	s_mul_i32 s22, s14, s21
	s_mul_hi_u32 s24, s14, s20
	s_mul_i32 s9, s15, s20
	s_add_nc_u64 s[22:23], s[24:25], s[22:23]
	s_mul_hi_u32 s2, s15, s20
	s_mul_hi_u32 s26, s15, s21
	s_add_co_u32 s9, s22, s9
	s_add_co_ci_u32 s24, s23, s2
	s_mul_i32 s20, s15, s21
	s_add_co_ci_u32 s21, s26, 0
	s_delay_alu instid0(SALU_CYCLE_1) | instskip(NEXT) | instid1(SALU_CYCLE_1)
	s_add_nc_u64 s[20:21], s[24:25], s[20:21]
	s_add_co_u32 s2, s14, s20
	s_cselect_b32 s9, -1, 0
	v_mul_hi_u32 v22, v14, s2
	s_cmp_lg_u32 s9, 0
	s_add_co_ci_u32 s24, s15, s21
	s_mov_b64 s[14:15], 0xffffffff
	v_mul_u64_e32 v[18:19], s[24:25], v[14:15]
	s_and_b64 s[14:15], s[2:3], s[14:15]
	v_mul_u64_e32 v[20:21], s[24:25], v[16:17]
	v_mul_u64_e32 v[12:13], s[14:15], v[16:17]
	s_delay_alu instid0(VALU_DEP_3) | instskip(NEXT) | instid1(VALU_DEP_1)
	v_add_nc_u64_e32 v[18:19], v[22:23], v[18:19]
	v_add_co_u32 v4, vcc_lo, v18, v12
	s_delay_alu instid0(VALU_DEP_2) | instskip(SKIP_1) | instid1(VALU_DEP_1)
	v_add_co_ci_u32_e32 v4, vcc_lo, v19, v13, vcc_lo
	v_add_co_ci_u32_e32 v21, vcc_lo, 0, v21, vcc_lo
	v_add_nc_u64_e32 v[4:5], v[4:5], v[20:21]
	s_delay_alu instid0(VALU_DEP_1) | instskip(NEXT) | instid1(VALU_DEP_1)
	v_mul_u64_e32 v[12:13], s[12:13], v[4:5]
	v_sub_nc_u32_e32 v9, v16, v13
	s_delay_alu instid0(VALU_DEP_2) | instskip(NEXT) | instid1(VALU_DEP_1)
	v_sub_co_u32 v12, vcc_lo, v14, v12
	v_sub_co_ci_u32_e64 v16, null, v16, v13, vcc_lo
	s_delay_alu instid0(VALU_DEP_3) | instskip(NEXT) | instid1(VALU_DEP_3)
	v_subrev_co_ci_u32_e64 v9, null, s13, v9, vcc_lo
	v_sub_co_u32 v14, s2, v12, s12
	s_delay_alu instid0(VALU_DEP_1) | instskip(NEXT) | instid1(VALU_DEP_2)
	v_subrev_co_ci_u32_e64 v9, null, 0, v9, s2
	v_cmp_le_u32_e32 vcc_lo, s12, v14
	v_cndmask_b32_e64 v13, 0, -1, vcc_lo
	s_delay_alu instid0(VALU_DEP_3)
	v_cmp_le_u32_e32 vcc_lo, s13, v9
	v_cndmask_b32_e64 v14, 0, -1, vcc_lo
	v_cmp_le_u32_e32 vcc_lo, s12, v12
	v_cndmask_b32_e64 v17, 0, -1, vcc_lo
	;; [unrolled: 2-line block ×3, first 2 shown]
	v_cmp_eq_u32_e32 vcc_lo, s13, v9
	v_cndmask_b32_e32 v9, v14, v13, vcc_lo
	v_cmp_eq_u32_e32 vcc_lo, s13, v16
	v_add_nc_u64_e32 v[12:13], 2, v[4:5]
	v_add_nc_u64_e32 v[14:15], 1, v[4:5]
	v_cndmask_b32_e32 v16, v18, v17, vcc_lo
	v_cmp_ne_u32_e32 vcc_lo, 0, v9
	s_delay_alu instid0(VALU_DEP_2) | instskip(NEXT) | instid1(VALU_DEP_4)
	v_cmp_ne_u32_e64 s2, 0, v16
	v_dual_cndmask_b32 v9, v15, v13 :: v_dual_cndmask_b32 v12, v14, v12
	s_delay_alu instid0(VALU_DEP_1) | instskip(NEXT) | instid1(VALU_DEP_1)
	v_dual_cndmask_b32 v5, v5, v9, s2 :: v_dual_cndmask_b32 v4, v4, v12, s2
	v_dual_mov_b32 v9, v8 :: v_dual_bitop2_b32 v5, v5, v8 bitop3:0x14
	s_delay_alu instid0(VALU_DEP_2) | instskip(NEXT) | instid1(VALU_DEP_1)
	v_xor_b32_e32 v4, v4, v8
	v_sub_nc_u64_e32 v[38:39], v[4:5], v[8:9]
.LBB2_23:
	s_and_not1_saveexec_b32 s2, s3
	s_cbranch_execz .LBB2_25
; %bb.24:
	v_cvt_f32_u32_e32 v4, s40
	s_sub_co_i32 s3, 0, s40
	v_mov_b32_e32 v39, 0
	s_delay_alu instid0(VALU_DEP_2) | instskip(SKIP_1) | instid1(TRANS32_DEP_1)
	v_rcp_iflag_f32_e32 v4, v4
	v_nop
	v_mul_f32_e32 v4, 0x4f7ffffe, v4
	s_delay_alu instid0(VALU_DEP_1) | instskip(NEXT) | instid1(VALU_DEP_1)
	v_cvt_u32_f32_e32 v4, v4
	v_mul_lo_u32 v5, s3, v4
	s_delay_alu instid0(VALU_DEP_1) | instskip(NEXT) | instid1(VALU_DEP_1)
	v_mul_hi_u32 v5, v4, v5
	v_add_nc_u32_e32 v4, v4, v5
	s_delay_alu instid0(VALU_DEP_1) | instskip(NEXT) | instid1(VALU_DEP_1)
	v_mul_hi_u32 v4, v36, v4
	v_mul_lo_u32 v5, v4, s40
	s_delay_alu instid0(VALU_DEP_1) | instskip(NEXT) | instid1(VALU_DEP_1)
	v_sub_nc_u32_e32 v5, v36, v5
	v_subrev_nc_u32_e32 v9, s40, v5
	v_cmp_le_u32_e32 vcc_lo, s40, v5
	s_delay_alu instid0(VALU_DEP_2) | instskip(NEXT) | instid1(VALU_DEP_1)
	v_dual_cndmask_b32 v5, v5, v9 :: v_dual_add_nc_u32 v8, 1, v4
	v_cndmask_b32_e32 v4, v4, v8, vcc_lo
	s_delay_alu instid0(VALU_DEP_2) | instskip(NEXT) | instid1(VALU_DEP_2)
	v_cmp_le_u32_e32 vcc_lo, s40, v5
	v_add_nc_u32_e32 v8, 1, v4
	s_delay_alu instid0(VALU_DEP_1)
	v_cndmask_b32_e32 v38, v4, v8, vcc_lo
.LBB2_25:
	s_or_b32 exec_lo, exec_lo, s2
	v_mul_u64_e32 v[4:5], s[10:11], v[10:11]
	s_load_b64 s[0:1], s[0:1], 0x80
	s_delay_alu instid0(VALU_DEP_1) | instskip(NEXT) | instid1(VALU_DEP_1)
	v_sub_nc_u64_e32 v[4:5], v[6:7], v[4:5]
	v_mad_nc_u64_u32 v[6:7], v4, s16, s[4:5]
	s_delay_alu instid0(VALU_DEP_1) | instskip(NEXT) | instid1(VALU_DEP_1)
	v_mad_u32 v5, v5, s16, v7
	v_mad_u32 v7, v4, s17, v5
	s_delay_alu instid0(VALU_DEP_1) | instskip(NEXT) | instid1(VALU_DEP_1)
	v_mad_nc_u64_u32 v[4:5], v10, s18, v[6:7]
	v_mad_u32 v5, v11, s18, v5
	s_delay_alu instid0(VALU_DEP_1) | instskip(NEXT) | instid1(VALU_DEP_1)
	v_mad_u32 v5, v10, s19, v5
	v_mad_nc_u64_u32 v[4:5], v2, s36, v[4:5]
	s_delay_alu instid0(VALU_DEP_1) | instskip(NEXT) | instid1(VALU_DEP_1)
	v_mad_u32 v3, v3, s36, v5
	v_mad_u32 v5, v2, s37, v3
	s_delay_alu instid0(VALU_DEP_1) | instskip(NEXT) | instid1(VALU_DEP_1)
	v_mad_nc_u64_u32 v[40:41], v0, s38, v[4:5]
	v_mad_u32 v1, v1, s38, v41
	s_delay_alu instid0(VALU_DEP_1)
	v_mad_u32 v41, v0, s39, v1
	s_clause 0x7
	global_load_b128 v[20:23], v[40:41], off
	global_load_b128 v[12:15], v[40:41], off offset:16
	global_load_b128 v[8:11], v[40:41], off offset:32
	;; [unrolled: 1-line block ×7, first 2 shown]
	s_wait_loadcnt 0x7
	v_cmp_lg_f32_e32 vcc_lo, 0, v20
	s_wait_xcnt 0x0
	v_cndmask_b32_e64 v41, 0, |v20|, vcc_lo
	v_cndmask_b32_e32 v40, 0, v20, vcc_lo
	s_delay_alu instid0(VALU_DEP_2) | instskip(NEXT) | instid1(VALU_DEP_1)
	v_cmp_lt_f32_e64 vcc_lo, v41, |v21|
	v_cndmask_b32_e64 v41, v41, |v21|, vcc_lo
	s_delay_alu instid0(VALU_DEP_3) | instskip(NEXT) | instid1(VALU_DEP_2)
	v_cndmask_b32_e32 v40, v40, v21, vcc_lo
	v_cmp_lt_f32_e64 vcc_lo, v41, |v22|
	s_delay_alu instid0(VALU_DEP_1) | instskip(NEXT) | instid1(VALU_DEP_3)
	v_cndmask_b32_e64 v41, v41, |v22|, vcc_lo
	v_cndmask_b32_e32 v40, v40, v22, vcc_lo
	s_delay_alu instid0(VALU_DEP_2) | instskip(NEXT) | instid1(VALU_DEP_1)
	v_cmp_lt_f32_e64 vcc_lo, v41, |v23|
	v_cndmask_b32_e64 v41, v41, |v23|, vcc_lo
	s_delay_alu instid0(VALU_DEP_3) | instskip(SKIP_1) | instid1(VALU_DEP_2)
	v_cndmask_b32_e32 v40, v40, v23, vcc_lo
	s_wait_loadcnt 0x6
	v_cmp_lt_f32_e64 vcc_lo, v41, |v12|
	s_delay_alu instid0(VALU_DEP_1) | instskip(NEXT) | instid1(VALU_DEP_3)
	v_cndmask_b32_e64 v41, v41, |v12|, vcc_lo
	v_cndmask_b32_e32 v40, v40, v12, vcc_lo
	s_delay_alu instid0(VALU_DEP_2) | instskip(NEXT) | instid1(VALU_DEP_1)
	v_cmp_lt_f32_e64 vcc_lo, v41, |v13|
	v_cndmask_b32_e64 v41, v41, |v13|, vcc_lo
	s_delay_alu instid0(VALU_DEP_3) | instskip(NEXT) | instid1(VALU_DEP_2)
	v_cndmask_b32_e32 v40, v40, v13, vcc_lo
	v_cmp_lt_f32_e64 vcc_lo, v41, |v14|
	s_delay_alu instid0(VALU_DEP_1) | instskip(NEXT) | instid1(VALU_DEP_3)
	v_cndmask_b32_e64 v41, v41, |v14|, vcc_lo
	v_cndmask_b32_e32 v40, v40, v14, vcc_lo
	s_delay_alu instid0(VALU_DEP_2) | instskip(NEXT) | instid1(VALU_DEP_1)
	v_cmp_lt_f32_e64 vcc_lo, v41, |v15|
	v_cndmask_b32_e64 v41, v41, |v15|, vcc_lo
	s_delay_alu instid0(VALU_DEP_3) | instskip(SKIP_1) | instid1(VALU_DEP_2)
	v_cndmask_b32_e32 v40, v40, v15, vcc_lo
	s_wait_loadcnt 0x5
	v_cmp_lt_f32_e64 vcc_lo, v41, |v8|
	s_delay_alu instid0(VALU_DEP_1) | instskip(NEXT) | instid1(VALU_DEP_3)
	;; [unrolled: 19-line block ×4, first 2 shown]
	v_cndmask_b32_e64 v41, v41, |v28|, vcc_lo
	v_cndmask_b32_e32 v40, v40, v28, vcc_lo
	s_delay_alu instid0(VALU_DEP_2) | instskip(NEXT) | instid1(VALU_DEP_1)
	v_cmp_lt_f32_e64 vcc_lo, v41, |v29|
	v_cndmask_b32_e64 v41, v41, |v29|, vcc_lo
	s_delay_alu instid0(VALU_DEP_3) | instskip(NEXT) | instid1(VALU_DEP_2)
	v_cndmask_b32_e32 v40, v40, v29, vcc_lo
	v_cmp_lt_f32_e64 vcc_lo, v41, |v30|
	s_delay_alu instid0(VALU_DEP_2) | instskip(NEXT) | instid1(VALU_DEP_2)
	v_cndmask_b32_e32 v42, v40, v30, vcc_lo
	v_cndmask_b32_e64 v43, v41, |v30|, vcc_lo
	v_mul_u64_e32 v[40:41], s[40:41], v[38:39]
	s_delay_alu instid0(VALU_DEP_2) | instskip(NEXT) | instid1(VALU_DEP_1)
	v_cmp_lt_f32_e64 vcc_lo, v43, |v31|
	v_cndmask_b32_e64 v43, v43, |v31|, vcc_lo
	s_delay_alu instid0(VALU_DEP_3) | instskip(NEXT) | instid1(VALU_DEP_1)
	v_sub_nc_u64_e32 v[36:37], v[36:37], v[40:41]
	v_dual_mov_b32 v41, 0 :: v_dual_ashrrev_i32 v40, 31, v37
	v_cndmask_b32_e32 v42, v42, v31, vcc_lo
	s_wait_loadcnt 0x2
	v_cmp_lt_f32_e64 vcc_lo, v43, |v24|
	s_delay_alu instid0(VALU_DEP_3) | instskip(NEXT) | instid1(VALU_DEP_2)
	v_lshrrev_b32_e32 v40, 27, v40
	v_cndmask_b32_e64 v43, v43, |v24|, vcc_lo
	v_cndmask_b32_e32 v42, v42, v24, vcc_lo
	s_delay_alu instid0(VALU_DEP_3) | instskip(NEXT) | instid1(VALU_DEP_3)
	v_add_nc_u64_e32 v[36:37], v[36:37], v[40:41]
	v_cmp_lt_f32_e64 vcc_lo, v43, |v25|
	s_delay_alu instid0(VALU_DEP_1) | instskip(NEXT) | instid1(VALU_DEP_4)
	v_cndmask_b32_e64 v43, v43, |v25|, vcc_lo
	v_cndmask_b32_e32 v42, v42, v25, vcc_lo
	s_delay_alu instid0(VALU_DEP_4) | instskip(NEXT) | instid1(VALU_DEP_3)
	v_ashrrev_i64 v[36:37], 5, v[36:37]
	v_cmp_lt_f32_e64 vcc_lo, v43, |v26|
	s_delay_alu instid0(VALU_DEP_2) | instskip(NEXT) | instid1(VALU_DEP_2)
	v_mad_nc_u64_u32 v[40:41], v36, s46, s[6:7]
	v_cndmask_b32_e64 v43, v43, |v26|, vcc_lo
	v_cndmask_b32_e32 v42, v42, v26, vcc_lo
	s_delay_alu instid0(VALU_DEP_2) | instskip(NEXT) | instid1(VALU_DEP_1)
	v_cmp_lt_f32_e64 vcc_lo, v43, |v27|
	v_cndmask_b32_e64 v43, v43, |v27|, vcc_lo
	s_delay_alu instid0(VALU_DEP_3) | instskip(SKIP_2) | instid1(VALU_DEP_3)
	v_cndmask_b32_e32 v42, v42, v27, vcc_lo
	v_mad_u32 v37, v37, s46, v41
	s_wait_loadcnt 0x1
	v_cmp_lt_f32_e64 vcc_lo, v43, |v16|
	s_delay_alu instid0(VALU_DEP_1) | instskip(SKIP_1) | instid1(VALU_DEP_4)
	v_cndmask_b32_e64 v43, v43, |v16|, vcc_lo
	v_cndmask_b32_e32 v42, v42, v16, vcc_lo
	v_mad_u32 v41, v36, s47, v37
	s_delay_alu instid0(VALU_DEP_3) | instskip(NEXT) | instid1(VALU_DEP_1)
	v_cmp_lt_f32_e64 vcc_lo, v43, |v17|
	v_cndmask_b32_e64 v43, v43, |v17|, vcc_lo
	s_delay_alu instid0(VALU_DEP_4) | instskip(NEXT) | instid1(VALU_DEP_4)
	v_cndmask_b32_e32 v42, v42, v17, vcc_lo
	v_mad_nc_u64_u32 v[40:41], v38, s48, v[40:41]
	s_delay_alu instid0(VALU_DEP_3) | instskip(NEXT) | instid1(VALU_DEP_1)
	v_cmp_lt_f32_e64 vcc_lo, v43, |v18|
	v_cndmask_b32_e64 v43, v43, |v18|, vcc_lo
	s_delay_alu instid0(VALU_DEP_4) | instskip(NEXT) | instid1(VALU_DEP_2)
	v_cndmask_b32_e32 v42, v42, v18, vcc_lo
	v_cmp_lt_f32_e64 vcc_lo, v43, |v19|
	v_mad_u32 v39, v39, s48, v41
	s_delay_alu instid0(VALU_DEP_2) | instskip(NEXT) | instid1(VALU_DEP_4)
	v_cndmask_b32_e64 v37, v43, |v19|, vcc_lo
	v_cndmask_b32_e32 v36, v42, v19, vcc_lo
	s_wait_loadcnt 0x0
	s_delay_alu instid0(VALU_DEP_2) | instskip(NEXT) | instid1(VALU_DEP_4)
	v_cmp_lt_f32_e64 vcc_lo, v37, |v4|
	v_mad_u32 v41, v38, s49, v39
	s_delay_alu instid0(VALU_DEP_2) | instskip(SKIP_1) | instid1(VALU_DEP_2)
	v_cndmask_b32_e64 v37, v37, |v4|, vcc_lo
	v_cndmask_b32_e32 v36, v36, v4, vcc_lo
	v_cmp_lt_f32_e64 vcc_lo, v37, |v5|
	s_delay_alu instid0(VALU_DEP_4) | instskip(NEXT) | instid1(VALU_DEP_2)
	v_mad_nc_u64_u32 v[38:39], v34, s50, v[40:41]
	v_cndmask_b32_e64 v37, v37, |v5|, vcc_lo
	s_delay_alu instid0(VALU_DEP_4) | instskip(NEXT) | instid1(VALU_DEP_2)
	v_cndmask_b32_e32 v36, v36, v5, vcc_lo
	v_cmp_lt_f32_e64 vcc_lo, v37, |v6|
	s_delay_alu instid0(VALU_DEP_4) | instskip(NEXT) | instid1(VALU_DEP_2)
	v_mad_u32 v35, v35, s50, v39
	v_cndmask_b32_e64 v37, v37, |v6|, vcc_lo
	s_delay_alu instid0(VALU_DEP_4) | instskip(NEXT) | instid1(VALU_DEP_2)
	v_cndmask_b32_e32 v36, v36, v6, vcc_lo
	v_cmp_lt_f32_e64 vcc_lo, v37, |v7|
	s_delay_alu instid0(VALU_DEP_2) | instskip(NEXT) | instid1(VALU_DEP_1)
	v_cndmask_b32_e32 v36, v36, v7, vcc_lo
	v_mul_f32_e32 v37, 0xbe000000, v36
	s_delay_alu instid0(VALU_DEP_1) | instskip(SKIP_1) | instid1(VALU_DEP_2)
	v_div_scale_f32 v40, null, v37, v37, 1.0
	v_div_scale_f32 v42, vcc_lo, 1.0, v37, 1.0
	v_rcp_f32_e32 v41, v40
	v_nop
	s_delay_alu instid0(TRANS32_DEP_1) | instskip(NEXT) | instid1(VALU_DEP_1)
	v_fma_f32 v39, -v40, v41, 1.0
	v_fmac_f32_e32 v41, v39, v41
	v_mad_u32 v39, v34, s51, v35
	s_delay_alu instid0(VALU_DEP_2) | instskip(NEXT) | instid1(VALU_DEP_1)
	v_mul_f32_e32 v43, v42, v41
	v_fma_f32 v34, -v40, v43, v42
	s_delay_alu instid0(VALU_DEP_1) | instskip(SKIP_1) | instid1(VALU_DEP_4)
	v_fmac_f32_e32 v43, v34, v41
	s_wait_kmcnt 0x0
	v_mad_nc_u64_u32 v[34:35], v32, s0, v[38:39]
	s_delay_alu instid0(VALU_DEP_2) | instskip(NEXT) | instid1(VALU_DEP_1)
	v_fma_f32 v38, -v40, v43, v42
	v_div_fmas_f32 v38, v38, v41, v43
	v_cmp_neq_f32_e32 vcc_lo, 0, v37
	s_delay_alu instid0(VALU_DEP_4) | instskip(SKIP_1) | instid1(VALU_DEP_3)
	v_mad_u32 v33, v33, s0, v35
	s_mov_b32 s0, 0xbe000000
	v_div_fixup_f32 v35, v38, v37, 1.0
	s_delay_alu instid0(VALU_DEP_1) | instskip(NEXT) | instid1(VALU_DEP_3)
	v_cndmask_b32_e32 v37, 0, v35, vcc_lo
	v_mad_u32 v35, v32, s1, v33
	s_delay_alu instid0(VALU_DEP_2)
	v_dual_fmaak_f32 v30, v30, v37, 0x41080000 :: v_dual_fmaak_f32 v17, v17, v37, 0x41080000
	v_dual_fmaak_f32 v32, v12, v37, 0x41080000 :: v_dual_fmaak_f32 v39, v10, v37, 0x41080000
	;; [unrolled: 1-line block ×4, first 2 shown]
	v_fmaak_f32 v28, v28, v37, 0x41080000
	v_dual_fmaak_f32 v24, v13, v37, 0x41080000 :: v_dual_fmaak_f32 v43, v6, v37, 0x41080000
	v_dual_fmaak_f32 v13, v26, v37, 0x41080000 :: v_dual_fmaak_f32 v38, v8, v37, 0x41080000
	v_fmaak_f32 v8, v16, v37, 0x41080000
	v_fmaak_f32 v10, v18, v37, 0x41080000
	;; [unrolled: 1-line block ×3, first 2 shown]
	v_cvt_i32_f32_e32 v4, v30
	v_fmaak_f32 v30, v2, v37, 0x41080000
	v_cvt_i32_f32_e32 v2, v12
	v_fmaak_f32 v16, v9, v37, 0x41080000
	v_fmaak_f32 v18, v11, v37, 0x41080000
	;; [unrolled: 1-line block ×3, first 2 shown]
	v_cvt_i32_f32_e32 v0, v28
	v_cvt_i32_f32_e32 v11, v13
	v_cvt_i32_f32_e32 v12, v8
	v_cvt_f64_i32_e32 v[8:9], v2
	v_cvt_i32_f32_e32 v2, v10
	v_cvt_i32_f32_e32 v42, v14
	v_dual_fmaak_f32 v26, v15, v37, 0x41080000 :: v_dual_fmaak_f32 v41, v1, v37, 0x41080000
	v_fmaak_f32 v28, v5, v37, 0x41080000
	v_cvt_f64_i32_e32 v[0:1], v0
	v_cvt_f64_i32_e32 v[4:5], v4
	;; [unrolled: 1-line block ×5, first 2 shown]
	v_fmaak_f32 v44, v3, v37, 0x41080000
	v_cvt_f64_i32_e32 v[2:3], v42
	v_fmaak_f32 v21, v21, v37, 0x41080000
	v_dual_fmaak_f32 v29, v29, v37, 0x41080000 :: v_dual_fmaak_f32 v22, v22, v37, 0x41080000
	v_fmaak_f32 v27, v27, v37, 0x41080000
	v_fmaak_f32 v23, v23, v37, 0x41080000
	;; [unrolled: 1-line block ×5, first 2 shown]
	v_cvt_i32_f32_e32 v29, v29
	v_cvt_i32_f32_e32 v54, v32
	;; [unrolled: 1-line block ×11, first 2 shown]
	v_min_num_f64_e32 v[6:7], 0x402e0000, v[8:9]
	v_cvt_i32_f32_e32 v37, v37
	v_cvt_i32_f32_e32 v20, v20
	;; [unrolled: 1-line block ×5, first 2 shown]
	v_min_num_f64_e32 v[0:1], 0x402e0000, v[0:1]
	v_min_num_f64_e32 v[4:5], 0x402e0000, v[4:5]
	;; [unrolled: 1-line block ×5, first 2 shown]
	v_cvt_i32_f32_e32 v50, v25
	v_min_num_f64_e32 v[2:3], 0x402e0000, v[2:3]
	v_cvt_i32_f32_e32 v52, v26
	v_cvt_i32_f32_e32 v56, v27
	;; [unrolled: 1-line block ×8, first 2 shown]
	v_cvt_f64_i32_e32 v[18:19], v29
	v_cvt_f64_i32_e32 v[24:25], v31
	;; [unrolled: 1-line block ×18, first 2 shown]
	v_cvt_i32_f64_e32 v37, v[0:1]
	v_cvt_f64_i32_e32 v[0:1], v56
	v_cvt_i32_f64_e32 v56, v[4:5]
	v_cvt_f64_i32_e32 v[4:5], v54
	;; [unrolled: 2-line block ×7, first 2 shown]
	v_min_num_f64_e32 v[18:19], 0x402e0000, v[18:19]
	v_min_num_f64_e32 v[24:25], 0x402e0000, v[24:25]
	;; [unrolled: 1-line block ×25, first 2 shown]
	v_cvt_i32_f64_e32 v26, v[26:27]
	v_cvt_i32_f64_e32 v28, v[28:29]
	v_cvt_i32_f64_e32 v29, v[30:31]
	v_cvt_i32_f64_e32 v30, v[32:33]
	v_cvt_i32_f64_e32 v31, v[38:39]
	v_cvt_i32_f64_e32 v32, v[40:41]
	v_cvt_i32_f64_e32 v14, v[14:15]
	v_cvt_i32_f64_e32 v15, v[20:21]
	v_cvt_i32_f64_e32 v33, v[42:43]
	v_cvt_i32_f64_e32 v38, v[44:45]
	v_cvt_i32_f64_e32 v39, v[46:47]
	v_cvt_i32_f64_e32 v40, v[48:49]
	v_cvt_i32_f64_e32 v27, v[50:51]
	v_cvt_i32_f64_e32 v41, v[52:53]
	v_cvt_i32_f64_e32 v0, v[0:1]
	v_cvt_i32_f64_e32 v1, v[16:17]
	v_cvt_i32_f64_e32 v16, v[18:19]
	v_cvt_i32_f64_e32 v17, v[22:23]
	v_cvt_i32_f64_e32 v18, v[24:25]
	v_cvt_i32_f64_e32 v4, v[4:5]
	v_cvt_i32_f64_e32 v5, v[6:7]
	v_cvt_i32_f64_e32 v6, v[8:9]
	v_cvt_i32_f64_e32 v7, v[10:11]
	v_lshlrev_b16 v11, 4, v55
	v_cvt_i32_f64_e32 v8, v[12:13]
	v_lshlrev_b16 v9, 4, v56
	v_cvt_i32_f64_e32 v2, v[2:3]
	v_lshlrev_b16 v3, 4, v37
	v_lshlrev_b16 v10, 4, v54
	;; [unrolled: 1-line block ×11, first 2 shown]
	v_or_b32_e32 v3, v3, v14
	v_lshlrev_b16 v25, 8, v33
	v_lshlrev_b16 v28, 12, v38
	;; [unrolled: 1-line block ×11, first 2 shown]
	v_or_b32_e32 v4, v10, v4
	v_or_b32_e32 v5, v11, v5
	;; [unrolled: 1-line block ×13, first 2 shown]
	v_bitop3_b16 v2, v2, v11, 0xff bitop3:0xec
	v_or_b32_e32 v9, v9, v15
	v_or_b32_e32 v15, v18, v17
	v_bitop3_b16 v8, v8, v10, 0xff bitop3:0xec
	v_bitop3_b16 v6, v6, v12, 0xff bitop3:0xec
	;; [unrolled: 1-line block ×6, first 2 shown]
	v_lshlrev_b32_e32 v2, 16, v2
	v_bitop3_b16 v3, v9, v15, 0xff bitop3:0xec
	v_and_b32_e32 v5, 0xffff, v8
	v_and_b32_e32 v6, 0xffff, v6
	v_lshlrev_b32_e32 v7, 16, v7
	v_and_b32_e32 v4, 0xffff, v4
	v_lshlrev_b32_e32 v0, 16, v0
	;; [unrolled: 2-line block ×3, first 2 shown]
	v_fma_mixlo_f16 v10, v36, s0, 0
	v_or_b32_e32 v3, v5, v2
	v_or_b32_e32 v2, v6, v7
	;; [unrolled: 1-line block ×4, first 2 shown]
	s_clause 0x1
	global_store_b16 v[34:35], v10, off
	global_store_b128 v[34:35], v[0:3], off offset:2
.LBB2_26:
	s_endpgm
	.section	.rodata,"a",@progbits
	.p2align	6, 0x0
	.amdhsa_kernel _ZL9cpy_f32_qIXadL_ZL17cpy_blck_f32_q4_0PKcPcEELi32EEvS1_S2_lllllllllllllll
		.amdhsa_group_segment_fixed_size 0
		.amdhsa_private_segment_fixed_size 0
		.amdhsa_kernarg_size 392
		.amdhsa_user_sgpr_count 2
		.amdhsa_user_sgpr_dispatch_ptr 0
		.amdhsa_user_sgpr_queue_ptr 0
		.amdhsa_user_sgpr_kernarg_segment_ptr 1
		.amdhsa_user_sgpr_dispatch_id 0
		.amdhsa_user_sgpr_kernarg_preload_length 0
		.amdhsa_user_sgpr_kernarg_preload_offset 0
		.amdhsa_user_sgpr_private_segment_size 0
		.amdhsa_wavefront_size32 1
		.amdhsa_uses_dynamic_stack 0
		.amdhsa_enable_private_segment 0
		.amdhsa_system_sgpr_workgroup_id_x 1
		.amdhsa_system_sgpr_workgroup_id_y 0
		.amdhsa_system_sgpr_workgroup_id_z 0
		.amdhsa_system_sgpr_workgroup_info 0
		.amdhsa_system_vgpr_workitem_id 0
		.amdhsa_next_free_vgpr 61
		.amdhsa_next_free_sgpr 52
		.amdhsa_named_barrier_count 0
		.amdhsa_reserve_vcc 1
		.amdhsa_float_round_mode_32 0
		.amdhsa_float_round_mode_16_64 0
		.amdhsa_float_denorm_mode_32 3
		.amdhsa_float_denorm_mode_16_64 3
		.amdhsa_fp16_overflow 0
		.amdhsa_memory_ordered 1
		.amdhsa_forward_progress 1
		.amdhsa_inst_pref_size 58
		.amdhsa_round_robin_scheduling 0
		.amdhsa_exception_fp_ieee_invalid_op 0
		.amdhsa_exception_fp_denorm_src 0
		.amdhsa_exception_fp_ieee_div_zero 0
		.amdhsa_exception_fp_ieee_overflow 0
		.amdhsa_exception_fp_ieee_underflow 0
		.amdhsa_exception_fp_ieee_inexact 0
		.amdhsa_exception_int_div_zero 0
	.end_amdhsa_kernel
	.section	.text._ZL9cpy_f32_qIXadL_ZL17cpy_blck_f32_q4_0PKcPcEELi32EEvS1_S2_lllllllllllllll,"axG",@progbits,_ZL9cpy_f32_qIXadL_ZL17cpy_blck_f32_q4_0PKcPcEELi32EEvS1_S2_lllllllllllllll,comdat
.Lfunc_end2:
	.size	_ZL9cpy_f32_qIXadL_ZL17cpy_blck_f32_q4_0PKcPcEELi32EEvS1_S2_lllllllllllllll, .Lfunc_end2-_ZL9cpy_f32_qIXadL_ZL17cpy_blck_f32_q4_0PKcPcEELi32EEvS1_S2_lllllllllllllll
                                        ; -- End function
	.set _ZL9cpy_f32_qIXadL_ZL17cpy_blck_f32_q4_0PKcPcEELi32EEvS1_S2_lllllllllllllll.num_vgpr, 61
	.set _ZL9cpy_f32_qIXadL_ZL17cpy_blck_f32_q4_0PKcPcEELi32EEvS1_S2_lllllllllllllll.num_agpr, 0
	.set _ZL9cpy_f32_qIXadL_ZL17cpy_blck_f32_q4_0PKcPcEELi32EEvS1_S2_lllllllllllllll.numbered_sgpr, 52
	.set _ZL9cpy_f32_qIXadL_ZL17cpy_blck_f32_q4_0PKcPcEELi32EEvS1_S2_lllllllllllllll.num_named_barrier, 0
	.set _ZL9cpy_f32_qIXadL_ZL17cpy_blck_f32_q4_0PKcPcEELi32EEvS1_S2_lllllllllllllll.private_seg_size, 0
	.set _ZL9cpy_f32_qIXadL_ZL17cpy_blck_f32_q4_0PKcPcEELi32EEvS1_S2_lllllllllllllll.uses_vcc, 1
	.set _ZL9cpy_f32_qIXadL_ZL17cpy_blck_f32_q4_0PKcPcEELi32EEvS1_S2_lllllllllllllll.uses_flat_scratch, 0
	.set _ZL9cpy_f32_qIXadL_ZL17cpy_blck_f32_q4_0PKcPcEELi32EEvS1_S2_lllllllllllllll.has_dyn_sized_stack, 0
	.set _ZL9cpy_f32_qIXadL_ZL17cpy_blck_f32_q4_0PKcPcEELi32EEvS1_S2_lllllllllllllll.has_recursion, 0
	.set _ZL9cpy_f32_qIXadL_ZL17cpy_blck_f32_q4_0PKcPcEELi32EEvS1_S2_lllllllllllllll.has_indirect_call, 0
	.section	.AMDGPU.csdata,"",@progbits
; Kernel info:
; codeLenInByte = 7384
; TotalNumSgprs: 54
; NumVgprs: 61
; ScratchSize: 0
; MemoryBound: 0
; FloatMode: 240
; IeeeMode: 1
; LDSByteSize: 0 bytes/workgroup (compile time only)
; SGPRBlocks: 0
; VGPRBlocks: 3
; NumSGPRsForWavesPerEU: 54
; NumVGPRsForWavesPerEU: 61
; NamedBarCnt: 0
; Occupancy: 16
; WaveLimiterHint : 0
; COMPUTE_PGM_RSRC2:SCRATCH_EN: 0
; COMPUTE_PGM_RSRC2:USER_SGPR: 2
; COMPUTE_PGM_RSRC2:TRAP_HANDLER: 0
; COMPUTE_PGM_RSRC2:TGID_X_EN: 1
; COMPUTE_PGM_RSRC2:TGID_Y_EN: 0
; COMPUTE_PGM_RSRC2:TGID_Z_EN: 0
; COMPUTE_PGM_RSRC2:TIDIG_COMP_CNT: 0
	.section	.text._ZL9cpy_q_f32IXadL_ZL14cpy_blck_q_f32IXadL_ZL15dequantize_q4_0PKvliR15HIP_vector_typeIfLj2EEEELi32EEvPKcPcEELi32EEvS7_S8_lllllllllllllll,"axG",@progbits,_ZL9cpy_q_f32IXadL_ZL14cpy_blck_q_f32IXadL_ZL15dequantize_q4_0PKvliR15HIP_vector_typeIfLj2EEEELi32EEvPKcPcEELi32EEvS7_S8_lllllllllllllll,comdat
	.globl	_ZL9cpy_q_f32IXadL_ZL14cpy_blck_q_f32IXadL_ZL15dequantize_q4_0PKvliR15HIP_vector_typeIfLj2EEEELi32EEvPKcPcEELi32EEvS7_S8_lllllllllllllll ; -- Begin function _ZL9cpy_q_f32IXadL_ZL14cpy_blck_q_f32IXadL_ZL15dequantize_q4_0PKvliR15HIP_vector_typeIfLj2EEEELi32EEvPKcPcEELi32EEvS7_S8_lllllllllllllll
	.p2align	8
	.type	_ZL9cpy_q_f32IXadL_ZL14cpy_blck_q_f32IXadL_ZL15dequantize_q4_0PKvliR15HIP_vector_typeIfLj2EEEELi32EEvPKcPcEELi32EEvS7_S8_lllllllllllllll,@function
_ZL9cpy_q_f32IXadL_ZL14cpy_blck_q_f32IXadL_ZL15dequantize_q4_0PKvliR15HIP_vector_typeIfLj2EEEELi32EEvPKcPcEELi32EEvS7_S8_lllllllllllllll: ; @_ZL9cpy_q_f32IXadL_ZL14cpy_blck_q_f32IXadL_ZL15dequantize_q4_0PKvliR15HIP_vector_typeIfLj2EEEELi32EEvPKcPcEELi32EEvS7_S8_lllllllllllllll
; %bb.0:
	s_load_b32 s2, s[0:1], 0x94
	s_bfe_u32 s3, ttmp6, 0x4000c
	v_mov_b32_e32 v2, 0
	s_add_co_i32 s3, s3, 1
	s_and_b32 s4, ttmp6, 15
	s_mul_i32 s3, ttmp9, s3
	s_getreg_b32 s5, hwreg(HW_REG_IB_STS2, 6, 4)
	v_mov_b32_e32 v1, v2
	s_add_co_i32 s3, s4, s3
	s_wait_kmcnt 0x0
	s_and_b32 s2, s2, 0xffff
	s_cmp_eq_u32 s5, 0
	s_load_b512 s[4:19], s[0:1], 0x0
	s_cselect_b32 s3, ttmp9, s3
	s_delay_alu instid0(SALU_CYCLE_1) | instskip(SKIP_1) | instid1(VALU_DEP_1)
	v_mad_nc_u64_u32 v[0:1], s2, s3, v[0:1]
	s_mov_b32 s2, exec_lo
	v_lshlrev_b64_e32 v[4:5], 5, v[0:1]
	s_wait_kmcnt 0x0
	s_delay_alu instid0(VALU_DEP_1)
	v_cmpx_gt_i64_e64 s[8:9], v[4:5]
	s_cbranch_execz .LBB3_26
; %bb.1:
	s_mul_u64 s[8:9], s[12:13], s[10:11]
                                        ; implicit-def: $vgpr0_vgpr1
	s_mov_b32 s2, exec_lo
	s_mul_u64 s[12:13], s[8:9], s[14:15]
	s_delay_alu instid0(SALU_CYCLE_1) | instskip(NEXT) | instid1(VALU_DEP_1)
	v_dual_ashrrev_i32 v8, 31, v5 :: v_dual_bitop2_b32 v3, s13, v5 bitop3:0x54
	v_cmpx_ne_u64_e32 0, v[2:3]
	s_xor_b32 s3, exec_lo, s2
	s_cbranch_execz .LBB3_3
; %bb.2:
	s_ashr_i32 s14, s13, 31
	s_mov_b32 s29, 0
	s_mov_b32 s15, s14
	v_dual_mov_b32 v9, v8 :: v_dual_mov_b32 v3, 0
	s_add_nc_u64 s[20:21], s[12:13], s[14:15]
	s_delay_alu instid0(SALU_CYCLE_1) | instskip(NEXT) | instid1(VALU_DEP_1)
	s_xor_b64 s[20:21], s[20:21], s[14:15]
	v_add_nc_u64_e32 v[0:1], v[4:5], v[8:9]
	s_cvt_f32_u32 s2, s20
	s_cvt_f32_u32 s15, s21
	s_sub_nc_u64 s[24:25], 0, s[20:21]
	v_dual_mov_b32 v7, v3 :: v_dual_mov_b32 v15, v3
	s_delay_alu instid0(SALU_CYCLE_1) | instskip(NEXT) | instid1(VALU_DEP_2)
	s_fmamk_f32 s2, s15, 0x4f800000, s2
	v_xor_b32_e32 v2, v0, v8
	v_xor_b32_e32 v6, v1, v8
	s_delay_alu instid0(SALU_CYCLE_1) | instskip(NEXT) | instid1(TRANS32_DEP_1)
	v_s_rcp_f32 s2, s2
	s_mul_f32 s2, s2, 0x5f7ffffc
	s_delay_alu instid0(SALU_CYCLE_3) | instskip(NEXT) | instid1(SALU_CYCLE_3)
	s_mul_f32 s15, s2, 0x2f800000
	s_trunc_f32 s15, s15
	s_delay_alu instid0(SALU_CYCLE_3) | instskip(SKIP_1) | instid1(SALU_CYCLE_2)
	s_fmamk_f32 s2, s15, 0xcf800000, s2
	s_cvt_u32_f32 s23, s15
	s_cvt_u32_f32 s22, s2
	s_delay_alu instid0(SALU_CYCLE_3) | instskip(NEXT) | instid1(SALU_CYCLE_1)
	s_mul_u64 s[26:27], s[24:25], s[22:23]
	s_mul_hi_u32 s31, s22, s27
	s_mul_i32 s30, s22, s27
	s_mul_hi_u32 s28, s22, s26
	s_mul_i32 s15, s23, s26
	s_add_nc_u64 s[30:31], s[28:29], s[30:31]
	s_mul_hi_u32 s2, s23, s26
	s_mul_hi_u32 s33, s23, s27
	s_add_co_u32 s15, s30, s15
	s_add_co_ci_u32 s28, s31, s2
	s_mul_i32 s26, s23, s27
	s_add_co_ci_u32 s27, s33, 0
	s_delay_alu instid0(SALU_CYCLE_1) | instskip(NEXT) | instid1(SALU_CYCLE_1)
	s_add_nc_u64 s[26:27], s[28:29], s[26:27]
	s_add_co_u32 s22, s22, s26
	s_cselect_b32 s2, -1, 0
	s_delay_alu instid0(SALU_CYCLE_1) | instskip(SKIP_1) | instid1(SALU_CYCLE_1)
	s_cmp_lg_u32 s2, 0
	s_add_co_ci_u32 s23, s23, s27
	s_mul_u64 s[24:25], s[24:25], s[22:23]
	s_delay_alu instid0(SALU_CYCLE_1)
	s_mul_hi_u32 s27, s22, s25
	s_mul_i32 s26, s22, s25
	s_mul_hi_u32 s28, s22, s24
	s_mul_i32 s15, s23, s24
	s_add_nc_u64 s[26:27], s[28:29], s[26:27]
	s_mul_hi_u32 s2, s23, s24
	s_mul_hi_u32 s30, s23, s25
	s_add_co_u32 s15, s26, s15
	s_add_co_ci_u32 s28, s27, s2
	s_mul_i32 s24, s23, s25
	s_add_co_ci_u32 s25, s30, 0
	s_delay_alu instid0(SALU_CYCLE_1) | instskip(NEXT) | instid1(SALU_CYCLE_1)
	s_add_nc_u64 s[24:25], s[28:29], s[24:25]
	s_add_co_u32 s2, s22, s24
	s_cselect_b32 s15, -1, 0
	v_nop
	v_mul_hi_u32 v14, v2, s2
	s_cmp_lg_u32 s15, 0
	s_add_co_ci_u32 s28, s23, s25
	s_mov_b64 s[22:23], 0xffffffff
	v_mul_u64_e32 v[10:11], s[28:29], v[2:3]
	s_and_b64 s[22:23], s[2:3], s[22:23]
	v_mul_u64_e32 v[12:13], s[28:29], v[6:7]
	v_mul_u64_e32 v[0:1], s[22:23], v[6:7]
	s_delay_alu instid0(VALU_DEP_3) | instskip(NEXT) | instid1(VALU_DEP_1)
	v_add_nc_u64_e32 v[10:11], v[14:15], v[10:11]
	v_add_co_u32 v0, vcc_lo, v10, v0
	s_delay_alu instid0(VALU_DEP_2) | instskip(SKIP_1) | instid1(VALU_DEP_1)
	v_add_co_ci_u32_e32 v14, vcc_lo, v11, v1, vcc_lo
	v_add_co_ci_u32_e32 v13, vcc_lo, 0, v13, vcc_lo
	v_add_nc_u64_e32 v[0:1], v[14:15], v[12:13]
	s_delay_alu instid0(VALU_DEP_1) | instskip(NEXT) | instid1(VALU_DEP_1)
	v_mul_u64_e32 v[10:11], s[20:21], v[0:1]
	v_sub_nc_u32_e32 v3, v6, v11
	s_delay_alu instid0(VALU_DEP_2) | instskip(NEXT) | instid1(VALU_DEP_1)
	v_sub_co_u32 v2, vcc_lo, v2, v10
	v_sub_co_ci_u32_e64 v9, null, v6, v11, vcc_lo
	s_delay_alu instid0(VALU_DEP_3) | instskip(NEXT) | instid1(VALU_DEP_3)
	v_subrev_co_ci_u32_e64 v3, null, s21, v3, vcc_lo
	v_sub_co_u32 v7, s2, v2, s20
	s_delay_alu instid0(VALU_DEP_1) | instskip(NEXT) | instid1(VALU_DEP_2)
	v_subrev_co_ci_u32_e64 v3, null, 0, v3, s2
	v_cmp_le_u32_e32 vcc_lo, s20, v7
	v_cndmask_b32_e64 v6, 0, -1, vcc_lo
	s_delay_alu instid0(VALU_DEP_3)
	v_cmp_le_u32_e32 vcc_lo, s21, v3
	v_cndmask_b32_e64 v7, 0, -1, vcc_lo
	v_cmp_le_u32_e32 vcc_lo, s20, v2
	v_cndmask_b32_e64 v10, 0, -1, vcc_lo
	;; [unrolled: 2-line block ×3, first 2 shown]
	v_cmp_eq_u32_e32 vcc_lo, s21, v3
	v_add_nc_u64_e32 v[2:3], 2, v[0:1]
	v_cndmask_b32_e32 v12, v7, v6, vcc_lo
	v_cmp_eq_u32_e32 vcc_lo, s21, v9
	v_add_nc_u64_e32 v[6:7], 1, v[0:1]
	v_cndmask_b32_e32 v9, v11, v10, vcc_lo
	s_delay_alu instid0(VALU_DEP_4) | instskip(NEXT) | instid1(VALU_DEP_3)
	v_cmp_ne_u32_e32 vcc_lo, 0, v12
	v_dual_cndmask_b32 v3, v7, v3 :: v_dual_cndmask_b32 v6, v6, v2
	v_xor_b32_e32 v2, s14, v8
	s_delay_alu instid0(VALU_DEP_4) | instskip(NEXT) | instid1(VALU_DEP_1)
	v_cmp_ne_u32_e64 s2, 0, v9
	v_dual_cndmask_b32 v1, v1, v3, s2 :: v_dual_cndmask_b32 v0, v0, v6, s2
	s_delay_alu instid0(VALU_DEP_1) | instskip(NEXT) | instid1(VALU_DEP_2)
	v_dual_mov_b32 v3, v2 :: v_dual_bitop2_b32 v1, v1, v2 bitop3:0x14
	v_xor_b32_e32 v0, v0, v2
	s_delay_alu instid0(VALU_DEP_1)
	v_sub_nc_u64_e32 v[0:1], v[0:1], v[2:3]
.LBB3_3:
	s_and_not1_saveexec_b32 s2, s3
	s_cbranch_execz .LBB3_5
; %bb.4:
	v_cvt_f32_u32_e32 v0, s12
	s_sub_co_i32 s3, 0, s12
	s_delay_alu instid0(VALU_DEP_1) | instskip(SKIP_1) | instid1(TRANS32_DEP_1)
	v_rcp_iflag_f32_e32 v0, v0
	v_nop
	v_mul_f32_e32 v0, 0x4f7ffffe, v0
	s_delay_alu instid0(VALU_DEP_1) | instskip(NEXT) | instid1(VALU_DEP_1)
	v_cvt_u32_f32_e32 v0, v0
	v_mul_lo_u32 v1, s3, v0
	s_delay_alu instid0(VALU_DEP_1) | instskip(NEXT) | instid1(VALU_DEP_1)
	v_mul_hi_u32 v1, v0, v1
	v_add_nc_u32_e32 v0, v0, v1
	s_delay_alu instid0(VALU_DEP_1) | instskip(NEXT) | instid1(VALU_DEP_1)
	v_mul_hi_u32 v0, v4, v0
	v_mul_lo_u32 v1, v0, s12
	s_delay_alu instid0(VALU_DEP_1) | instskip(NEXT) | instid1(VALU_DEP_1)
	v_dual_add_nc_u32 v2, 1, v0 :: v_dual_sub_nc_u32 v1, v4, v1
	v_subrev_nc_u32_e32 v3, s12, v1
	v_cmp_le_u32_e32 vcc_lo, s12, v1
	s_delay_alu instid0(VALU_DEP_2) | instskip(NEXT) | instid1(VALU_DEP_1)
	v_dual_cndmask_b32 v1, v1, v3 :: v_dual_cndmask_b32 v0, v0, v2
	v_cmp_le_u32_e32 vcc_lo, s12, v1
	s_delay_alu instid0(VALU_DEP_2) | instskip(NEXT) | instid1(VALU_DEP_1)
	v_dual_mov_b32 v1, 0 :: v_dual_add_nc_u32 v2, 1, v0
	v_cndmask_b32_e32 v0, v0, v2, vcc_lo
.LBB3_5:
	s_or_b32 exec_lo, exec_lo, s2
	s_delay_alu instid0(VALU_DEP_1) | instskip(SKIP_2) | instid1(VALU_DEP_2)
	v_mul_u64_e32 v[2:3], s[12:13], v[0:1]
	s_mov_b32 s2, exec_lo
	v_mov_b32_e32 v10, 0
	v_sub_nc_u64_e32 v[6:7], v[4:5], v[2:3]
                                        ; implicit-def: $vgpr2_vgpr3
	s_delay_alu instid0(VALU_DEP_1) | instskip(NEXT) | instid1(VALU_DEP_1)
	v_or_b32_e32 v11, s9, v7
	v_cmpx_ne_u64_e32 0, v[10:11]
	s_xor_b32 s3, exec_lo, s2
	s_cbranch_execz .LBB3_7
; %bb.6:
	s_ashr_i32 s12, s9, 31
	s_mov_b32 s27, 0
	s_mov_b32 s13, s12
	v_dual_mov_b32 v15, v10 :: v_dual_ashrrev_i32 v2, 31, v7
	s_add_nc_u64 s[14:15], s[8:9], s[12:13]
	v_dual_mov_b32 v23, v10 :: v_dual_mov_b32 v11, v10
	s_xor_b64 s[14:15], s[14:15], s[12:13]
	s_delay_alu instid0(VALU_DEP_2) | instskip(SKIP_3) | instid1(VALU_DEP_1)
	v_mov_b32_e32 v3, v2
	s_cvt_f32_u32 s2, s14
	s_cvt_f32_u32 s13, s15
	s_sub_nc_u64 s[22:23], 0, s[14:15]
	v_add_nc_u64_e32 v[12:13], v[6:7], v[2:3]
	s_delay_alu instid0(SALU_CYCLE_1) | instskip(SKIP_1) | instid1(SALU_CYCLE_2)
	s_fmamk_f32 s2, s13, 0x4f800000, s2
	v_mov_b32_e32 v17, v10
	v_s_rcp_f32 s2, s2
	s_delay_alu instid0(VALU_DEP_2) | instskip(NEXT) | instid1(VALU_DEP_3)
	v_xor_b32_e32 v14, v12, v2
	v_xor_b32_e32 v16, v13, v2
	;; [unrolled: 1-line block ×3, first 2 shown]
	s_delay_alu instid0(TRANS32_DEP_1) | instskip(NEXT) | instid1(SALU_CYCLE_3)
	s_mul_f32 s2, s2, 0x5f7ffffc
	s_mul_f32 s13, s2, 0x2f800000
	s_delay_alu instid0(SALU_CYCLE_3) | instskip(NEXT) | instid1(SALU_CYCLE_3)
	s_trunc_f32 s13, s13
	s_fmamk_f32 s2, s13, 0xcf800000, s2
	s_cvt_u32_f32 s21, s13
	s_delay_alu instid0(SALU_CYCLE_2) | instskip(NEXT) | instid1(SALU_CYCLE_3)
	s_cvt_u32_f32 s20, s2
	s_mul_u64 s[24:25], s[22:23], s[20:21]
	s_delay_alu instid0(SALU_CYCLE_1)
	s_mul_hi_u32 s29, s20, s25
	s_mul_i32 s28, s20, s25
	s_mul_hi_u32 s26, s20, s24
	s_mul_i32 s13, s21, s24
	s_add_nc_u64 s[28:29], s[26:27], s[28:29]
	s_mul_hi_u32 s2, s21, s24
	s_mul_hi_u32 s30, s21, s25
	s_add_co_u32 s13, s28, s13
	s_add_co_ci_u32 s26, s29, s2
	s_mul_i32 s24, s21, s25
	s_add_co_ci_u32 s25, s30, 0
	s_delay_alu instid0(SALU_CYCLE_1) | instskip(NEXT) | instid1(SALU_CYCLE_1)
	s_add_nc_u64 s[24:25], s[26:27], s[24:25]
	s_add_co_u32 s20, s20, s24
	s_cselect_b32 s2, -1, 0
	s_delay_alu instid0(SALU_CYCLE_1) | instskip(SKIP_1) | instid1(SALU_CYCLE_1)
	s_cmp_lg_u32 s2, 0
	s_add_co_ci_u32 s21, s21, s25
	s_mul_u64 s[22:23], s[22:23], s[20:21]
	s_delay_alu instid0(SALU_CYCLE_1)
	s_mul_hi_u32 s25, s20, s23
	s_mul_i32 s24, s20, s23
	s_mul_hi_u32 s26, s20, s22
	s_mul_i32 s13, s21, s22
	s_add_nc_u64 s[24:25], s[26:27], s[24:25]
	s_mul_hi_u32 s2, s21, s22
	s_mul_hi_u32 s28, s21, s23
	s_add_co_u32 s13, s24, s13
	s_add_co_ci_u32 s26, s25, s2
	s_mul_i32 s22, s21, s23
	s_add_co_ci_u32 s23, s28, 0
	s_delay_alu instid0(SALU_CYCLE_1) | instskip(NEXT) | instid1(SALU_CYCLE_1)
	s_add_nc_u64 s[22:23], s[26:27], s[22:23]
	s_add_co_u32 s2, s20, s22
	s_cselect_b32 s13, -1, 0
	v_mul_hi_u32 v22, v14, s2
	s_cmp_lg_u32 s13, 0
	s_add_co_ci_u32 s26, s21, s23
	s_mov_b64 s[20:21], 0xffffffff
	v_mul_u64_e32 v[18:19], s[26:27], v[14:15]
	s_and_b64 s[20:21], s[2:3], s[20:21]
	v_mul_u64_e32 v[20:21], s[26:27], v[16:17]
	v_mul_u64_e32 v[12:13], s[20:21], v[16:17]
	s_delay_alu instid0(VALU_DEP_3) | instskip(NEXT) | instid1(VALU_DEP_1)
	v_add_nc_u64_e32 v[18:19], v[22:23], v[18:19]
	v_add_co_u32 v3, vcc_lo, v18, v12
	s_delay_alu instid0(VALU_DEP_2) | instskip(SKIP_1) | instid1(VALU_DEP_1)
	v_add_co_ci_u32_e32 v10, vcc_lo, v19, v13, vcc_lo
	v_add_co_ci_u32_e32 v21, vcc_lo, 0, v21, vcc_lo
	v_add_nc_u64_e32 v[10:11], v[10:11], v[20:21]
	s_delay_alu instid0(VALU_DEP_1) | instskip(NEXT) | instid1(VALU_DEP_1)
	v_mul_u64_e32 v[12:13], s[14:15], v[10:11]
	v_sub_co_u32 v9, vcc_lo, v14, v12
	v_add_nc_u64_e32 v[14:15], 1, v[10:11]
	s_delay_alu instid0(VALU_DEP_3) | instskip(SKIP_1) | instid1(VALU_DEP_4)
	v_sub_nc_u32_e32 v3, v16, v13
	v_sub_co_ci_u32_e64 v16, null, v16, v13, vcc_lo
	v_sub_co_u32 v12, s2, v9, s14
	s_delay_alu instid0(VALU_DEP_3) | instskip(NEXT) | instid1(VALU_DEP_2)
	v_subrev_co_ci_u32_e64 v3, null, s15, v3, vcc_lo
	v_cmp_le_u32_e32 vcc_lo, s14, v12
	s_delay_alu instid0(VALU_DEP_2) | instskip(SKIP_1) | instid1(VALU_DEP_2)
	v_subrev_co_ci_u32_e64 v3, null, 0, v3, s2
	v_cndmask_b32_e64 v12, 0, -1, vcc_lo
	v_cmp_le_u32_e32 vcc_lo, s15, v3
	v_cndmask_b32_e64 v13, 0, -1, vcc_lo
	v_cmp_le_u32_e32 vcc_lo, s14, v9
	;; [unrolled: 2-line block ×3, first 2 shown]
	v_cndmask_b32_e64 v17, 0, -1, vcc_lo
	v_cmp_eq_u32_e32 vcc_lo, s15, v3
	v_cndmask_b32_e32 v3, v13, v12, vcc_lo
	v_cmp_eq_u32_e32 vcc_lo, s15, v16
	v_add_nc_u64_e32 v[12:13], 2, v[10:11]
	v_cndmask_b32_e32 v9, v17, v9, vcc_lo
	s_delay_alu instid0(VALU_DEP_4) | instskip(NEXT) | instid1(VALU_DEP_2)
	v_cmp_ne_u32_e32 vcc_lo, 0, v3
	v_cmp_ne_u32_e64 s2, 0, v9
	s_delay_alu instid0(VALU_DEP_4) | instskip(NEXT) | instid1(VALU_DEP_1)
	v_cndmask_b32_e32 v9, v14, v12, vcc_lo
	v_cndmask_b32_e64 v9, v10, v9, s2
	s_delay_alu instid0(VALU_DEP_1) | instskip(NEXT) | instid1(VALU_DEP_1)
	v_dual_cndmask_b32 v3, v15, v13, vcc_lo :: v_dual_bitop2_b32 v10, v9, v2 bitop3:0x14
	v_dual_cndmask_b32 v11, v11, v3, s2 :: v_dual_mov_b32 v3, v2
	s_delay_alu instid0(VALU_DEP_1) | instskip(NEXT) | instid1(VALU_DEP_1)
	v_xor_b32_e32 v11, v11, v2
	v_sub_nc_u64_e32 v[2:3], v[10:11], v[2:3]
.LBB3_7:
	s_and_not1_saveexec_b32 s2, s3
	s_cbranch_execz .LBB3_9
; %bb.8:
	v_cvt_f32_u32_e32 v2, s8
	s_sub_co_i32 s3, 0, s8
	s_delay_alu instid0(VALU_DEP_1) | instskip(SKIP_1) | instid1(TRANS32_DEP_1)
	v_rcp_iflag_f32_e32 v2, v2
	v_nop
	v_mul_f32_e32 v2, 0x4f7ffffe, v2
	s_delay_alu instid0(VALU_DEP_1) | instskip(NEXT) | instid1(VALU_DEP_1)
	v_cvt_u32_f32_e32 v2, v2
	v_mul_lo_u32 v3, s3, v2
	s_delay_alu instid0(VALU_DEP_1) | instskip(NEXT) | instid1(VALU_DEP_1)
	v_mul_hi_u32 v3, v2, v3
	v_add_nc_u32_e32 v2, v2, v3
	s_delay_alu instid0(VALU_DEP_1) | instskip(NEXT) | instid1(VALU_DEP_1)
	v_mul_hi_u32 v2, v6, v2
	v_mul_lo_u32 v3, v2, s8
	s_delay_alu instid0(VALU_DEP_1) | instskip(NEXT) | instid1(VALU_DEP_1)
	v_dual_add_nc_u32 v9, 1, v2 :: v_dual_sub_nc_u32 v3, v6, v3
	v_subrev_nc_u32_e32 v10, s8, v3
	v_cmp_le_u32_e32 vcc_lo, s8, v3
	s_delay_alu instid0(VALU_DEP_2) | instskip(NEXT) | instid1(VALU_DEP_1)
	v_dual_cndmask_b32 v3, v3, v10 :: v_dual_cndmask_b32 v2, v2, v9
	v_cmp_le_u32_e32 vcc_lo, s8, v3
	s_delay_alu instid0(VALU_DEP_2) | instskip(NEXT) | instid1(VALU_DEP_1)
	v_dual_add_nc_u32 v9, 1, v2 :: v_dual_mov_b32 v3, 0
	v_cndmask_b32_e32 v2, v2, v9, vcc_lo
.LBB3_9:
	s_or_b32 exec_lo, exec_lo, s2
	s_delay_alu instid0(VALU_DEP_1) | instskip(SKIP_2) | instid1(VALU_DEP_2)
	v_mul_u64_e32 v[10:11], s[8:9], v[2:3]
	s_mov_b32 s2, exec_lo
	v_mov_b32_e32 v12, 0
	v_sub_nc_u64_e32 v[6:7], v[6:7], v[10:11]
                                        ; implicit-def: $vgpr10_vgpr11
	s_delay_alu instid0(VALU_DEP_1) | instskip(NEXT) | instid1(VALU_DEP_1)
	v_or_b32_e32 v13, s11, v7
	v_cmpx_ne_u64_e32 0, v[12:13]
	s_xor_b32 s3, exec_lo, s2
	s_cbranch_execz .LBB3_11
; %bb.10:
	s_ashr_i32 s8, s11, 31
	s_mov_b32 s25, 0
	s_mov_b32 s9, s8
	v_dual_mov_b32 v17, v12 :: v_dual_ashrrev_i32 v10, 31, v7
	s_add_nc_u64 s[12:13], s[10:11], s[8:9]
	v_mov_b32_e32 v19, v12
	s_xor_b64 s[12:13], s[12:13], s[8:9]
	s_delay_alu instid0(VALU_DEP_2)
	v_mov_b32_e32 v11, v10
	s_cvt_f32_u32 s2, s12
	s_cvt_f32_u32 s9, s13
	s_sub_nc_u64 s[20:21], 0, s[12:13]
	v_mov_b32_e32 v25, v12
	v_add_nc_u64_e32 v[14:15], v[6:7], v[10:11]
	s_fmamk_f32 s2, s9, 0x4f800000, s2
	v_mov_b32_e32 v13, v12
	s_delay_alu instid0(SALU_CYCLE_2) | instskip(NEXT) | instid1(VALU_DEP_2)
	v_s_rcp_f32 s2, s2
	v_xor_b32_e32 v16, v14, v10
	s_delay_alu instid0(VALU_DEP_3) | instskip(SKIP_1) | instid1(TRANS32_DEP_1)
	v_xor_b32_e32 v18, v15, v10
	v_xor_b32_e32 v10, s8, v10
	s_mul_f32 s2, s2, 0x5f7ffffc
	s_delay_alu instid0(SALU_CYCLE_3) | instskip(NEXT) | instid1(SALU_CYCLE_3)
	s_mul_f32 s9, s2, 0x2f800000
	s_trunc_f32 s9, s9
	s_delay_alu instid0(SALU_CYCLE_3) | instskip(SKIP_1) | instid1(SALU_CYCLE_2)
	s_fmamk_f32 s2, s9, 0xcf800000, s2
	s_cvt_u32_f32 s15, s9
	s_cvt_u32_f32 s14, s2
	s_delay_alu instid0(SALU_CYCLE_3) | instskip(NEXT) | instid1(SALU_CYCLE_1)
	s_mul_u64 s[22:23], s[20:21], s[14:15]
	s_mul_hi_u32 s27, s14, s23
	s_mul_i32 s26, s14, s23
	s_mul_hi_u32 s24, s14, s22
	s_mul_i32 s9, s15, s22
	s_add_nc_u64 s[26:27], s[24:25], s[26:27]
	s_mul_hi_u32 s2, s15, s22
	s_mul_hi_u32 s28, s15, s23
	s_add_co_u32 s9, s26, s9
	s_add_co_ci_u32 s24, s27, s2
	s_mul_i32 s22, s15, s23
	s_add_co_ci_u32 s23, s28, 0
	s_delay_alu instid0(SALU_CYCLE_1) | instskip(NEXT) | instid1(SALU_CYCLE_1)
	s_add_nc_u64 s[22:23], s[24:25], s[22:23]
	s_add_co_u32 s14, s14, s22
	s_cselect_b32 s2, -1, 0
	s_delay_alu instid0(SALU_CYCLE_1) | instskip(SKIP_1) | instid1(SALU_CYCLE_1)
	s_cmp_lg_u32 s2, 0
	s_add_co_ci_u32 s15, s15, s23
	s_mul_u64 s[20:21], s[20:21], s[14:15]
	s_delay_alu instid0(SALU_CYCLE_1)
	s_mul_hi_u32 s23, s14, s21
	s_mul_i32 s22, s14, s21
	s_mul_hi_u32 s24, s14, s20
	s_mul_i32 s9, s15, s20
	s_add_nc_u64 s[22:23], s[24:25], s[22:23]
	s_mul_hi_u32 s2, s15, s20
	s_mul_hi_u32 s26, s15, s21
	s_add_co_u32 s9, s22, s9
	s_add_co_ci_u32 s24, s23, s2
	s_mul_i32 s20, s15, s21
	s_add_co_ci_u32 s21, s26, 0
	s_delay_alu instid0(SALU_CYCLE_1) | instskip(NEXT) | instid1(SALU_CYCLE_1)
	s_add_nc_u64 s[20:21], s[24:25], s[20:21]
	s_add_co_u32 s2, s14, s20
	s_cselect_b32 s9, -1, 0
	v_mul_hi_u32 v24, v16, s2
	s_cmp_lg_u32 s9, 0
	s_add_co_ci_u32 s24, s15, s21
	s_mov_b64 s[14:15], 0xffffffff
	v_mul_u64_e32 v[20:21], s[24:25], v[16:17]
	s_and_b64 s[14:15], s[2:3], s[14:15]
	v_mul_u64_e32 v[22:23], s[24:25], v[18:19]
	v_mul_u64_e32 v[14:15], s[14:15], v[18:19]
	s_delay_alu instid0(VALU_DEP_3) | instskip(NEXT) | instid1(VALU_DEP_1)
	v_add_nc_u64_e32 v[20:21], v[24:25], v[20:21]
	v_add_co_u32 v9, vcc_lo, v20, v14
	s_delay_alu instid0(VALU_DEP_2) | instskip(SKIP_1) | instid1(VALU_DEP_1)
	v_add_co_ci_u32_e32 v12, vcc_lo, v21, v15, vcc_lo
	v_add_co_ci_u32_e32 v23, vcc_lo, 0, v23, vcc_lo
	v_add_nc_u64_e32 v[12:13], v[12:13], v[22:23]
	s_delay_alu instid0(VALU_DEP_1) | instskip(NEXT) | instid1(VALU_DEP_1)
	v_mul_u64_e32 v[14:15], s[12:13], v[12:13]
	v_sub_co_u32 v11, vcc_lo, v16, v14
	v_add_nc_u64_e32 v[16:17], 1, v[12:13]
	s_delay_alu instid0(VALU_DEP_3) | instskip(SKIP_1) | instid1(VALU_DEP_4)
	v_sub_nc_u32_e32 v9, v18, v15
	v_sub_co_ci_u32_e64 v18, null, v18, v15, vcc_lo
	v_sub_co_u32 v14, s2, v11, s12
	s_delay_alu instid0(VALU_DEP_3) | instskip(NEXT) | instid1(VALU_DEP_2)
	v_subrev_co_ci_u32_e64 v9, null, s13, v9, vcc_lo
	v_cmp_le_u32_e32 vcc_lo, s12, v14
	s_delay_alu instid0(VALU_DEP_2) | instskip(SKIP_1) | instid1(VALU_DEP_2)
	v_subrev_co_ci_u32_e64 v9, null, 0, v9, s2
	v_cndmask_b32_e64 v14, 0, -1, vcc_lo
	v_cmp_le_u32_e32 vcc_lo, s13, v9
	v_cndmask_b32_e64 v15, 0, -1, vcc_lo
	v_cmp_le_u32_e32 vcc_lo, s12, v11
	;; [unrolled: 2-line block ×3, first 2 shown]
	v_cndmask_b32_e64 v19, 0, -1, vcc_lo
	v_cmp_eq_u32_e32 vcc_lo, s13, v9
	v_cndmask_b32_e32 v9, v15, v14, vcc_lo
	v_cmp_eq_u32_e32 vcc_lo, s13, v18
	v_add_nc_u64_e32 v[14:15], 2, v[12:13]
	v_cndmask_b32_e32 v11, v19, v11, vcc_lo
	s_delay_alu instid0(VALU_DEP_4) | instskip(NEXT) | instid1(VALU_DEP_2)
	v_cmp_ne_u32_e32 vcc_lo, 0, v9
	v_cmp_ne_u32_e64 s2, 0, v11
	s_delay_alu instid0(VALU_DEP_4) | instskip(NEXT) | instid1(VALU_DEP_1)
	v_dual_cndmask_b32 v9, v17, v15, vcc_lo :: v_dual_cndmask_b32 v11, v16, v14, vcc_lo
	v_dual_cndmask_b32 v12, v12, v11, s2 :: v_dual_mov_b32 v11, v10
	s_delay_alu instid0(VALU_DEP_1) | instskip(NEXT) | instid1(VALU_DEP_1)
	v_dual_cndmask_b32 v9, v13, v9, s2 :: v_dual_bitop2_b32 v12, v12, v10 bitop3:0x14
	v_xor_b32_e32 v13, v9, v10
	s_delay_alu instid0(VALU_DEP_1)
	v_sub_nc_u64_e32 v[10:11], v[12:13], v[10:11]
.LBB3_11:
	s_and_not1_saveexec_b32 s2, s3
	s_cbranch_execz .LBB3_13
; %bb.12:
	v_cvt_f32_u32_e32 v9, s10
	s_sub_co_i32 s3, 0, s10
	s_delay_alu instid0(VALU_DEP_1) | instskip(SKIP_1) | instid1(TRANS32_DEP_1)
	v_rcp_iflag_f32_e32 v9, v9
	v_nop
	v_mul_f32_e32 v9, 0x4f7ffffe, v9
	s_delay_alu instid0(VALU_DEP_1) | instskip(NEXT) | instid1(VALU_DEP_1)
	v_cvt_u32_f32_e32 v9, v9
	v_mul_lo_u32 v10, s3, v9
	s_delay_alu instid0(VALU_DEP_1) | instskip(NEXT) | instid1(VALU_DEP_1)
	v_mul_hi_u32 v10, v9, v10
	v_add_nc_u32_e32 v9, v9, v10
	s_delay_alu instid0(VALU_DEP_1) | instskip(NEXT) | instid1(VALU_DEP_1)
	v_mul_hi_u32 v9, v6, v9
	v_mul_lo_u32 v10, v9, s10
	s_delay_alu instid0(VALU_DEP_1) | instskip(NEXT) | instid1(VALU_DEP_1)
	v_dual_add_nc_u32 v11, 1, v9 :: v_dual_sub_nc_u32 v10, v6, v10
	v_subrev_nc_u32_e32 v12, s10, v10
	v_cmp_le_u32_e32 vcc_lo, s10, v10
	s_delay_alu instid0(VALU_DEP_2) | instskip(NEXT) | instid1(VALU_DEP_1)
	v_dual_cndmask_b32 v10, v10, v12 :: v_dual_cndmask_b32 v9, v9, v11
	v_cmp_le_u32_e32 vcc_lo, s10, v10
	s_delay_alu instid0(VALU_DEP_2) | instskip(NEXT) | instid1(VALU_DEP_1)
	v_add_nc_u32_e32 v11, 1, v9
	v_dual_cndmask_b32 v10, v9, v11 :: v_dual_mov_b32 v11, 0
.LBB3_13:
	s_or_b32 exec_lo, exec_lo, s2
	s_load_b512 s[36:51], s[0:1], 0x40
                                        ; implicit-def: $vgpr12_vgpr13
	s_mov_b32 s2, exec_lo
	v_mov_b32_e32 v14, 0
	s_wait_kmcnt 0x0
	s_mul_u64 s[8:9], s[42:43], s[40:41]
	s_delay_alu instid0(SALU_CYCLE_1) | instskip(NEXT) | instid1(SALU_CYCLE_1)
	s_mul_u64 s[12:13], s[8:9], s[44:45]
	v_or_b32_e32 v15, s13, v5
	s_delay_alu instid0(VALU_DEP_1)
	v_cmpx_ne_u64_e32 0, v[14:15]
	s_xor_b32 s3, exec_lo, s2
	s_cbranch_execz .LBB3_15
; %bb.14:
	s_ashr_i32 s14, s13, 31
	s_mov_b32 s29, 0
	s_mov_b32 s15, s14
	v_dual_mov_b32 v9, v8 :: v_dual_mov_b32 v17, v14
	s_add_nc_u64 s[20:21], s[12:13], s[14:15]
	v_mov_b32_e32 v15, v14
	s_xor_b64 s[20:21], s[20:21], s[14:15]
	s_delay_alu instid0(VALU_DEP_2) | instskip(SKIP_4) | instid1(SALU_CYCLE_1)
	v_add_nc_u64_e32 v[12:13], v[4:5], v[8:9]
	s_cvt_f32_u32 s2, s20
	s_cvt_f32_u32 s15, s21
	s_sub_nc_u64 s[24:25], 0, s[20:21]
	v_dual_mov_b32 v19, v14 :: v_dual_mov_b32 v25, v14
	s_fmamk_f32 s2, s15, 0x4f800000, s2
	s_delay_alu instid0(VALU_DEP_2) | instskip(SKIP_3) | instid1(TRANS32_DEP_1)
	v_xor_b32_e32 v16, v12, v8
	v_xor_b32_e32 v18, v13, v8
	;; [unrolled: 1-line block ×3, first 2 shown]
	v_s_rcp_f32 s2, s2
	s_mul_f32 s2, s2, 0x5f7ffffc
	s_delay_alu instid0(SALU_CYCLE_3) | instskip(NEXT) | instid1(SALU_CYCLE_3)
	s_mul_f32 s15, s2, 0x2f800000
	s_trunc_f32 s15, s15
	s_delay_alu instid0(SALU_CYCLE_3) | instskip(SKIP_1) | instid1(SALU_CYCLE_2)
	s_fmamk_f32 s2, s15, 0xcf800000, s2
	s_cvt_u32_f32 s23, s15
	s_cvt_u32_f32 s22, s2
	s_delay_alu instid0(SALU_CYCLE_3) | instskip(NEXT) | instid1(SALU_CYCLE_1)
	s_mul_u64 s[26:27], s[24:25], s[22:23]
	s_mul_hi_u32 s31, s22, s27
	s_mul_i32 s30, s22, s27
	s_mul_hi_u32 s28, s22, s26
	s_mul_i32 s15, s23, s26
	s_add_nc_u64 s[30:31], s[28:29], s[30:31]
	s_mul_hi_u32 s2, s23, s26
	s_mul_hi_u32 s33, s23, s27
	s_add_co_u32 s15, s30, s15
	s_add_co_ci_u32 s28, s31, s2
	s_mul_i32 s26, s23, s27
	s_add_co_ci_u32 s27, s33, 0
	s_delay_alu instid0(SALU_CYCLE_1) | instskip(NEXT) | instid1(SALU_CYCLE_1)
	s_add_nc_u64 s[26:27], s[28:29], s[26:27]
	s_add_co_u32 s22, s22, s26
	s_cselect_b32 s2, -1, 0
	s_delay_alu instid0(SALU_CYCLE_1) | instskip(SKIP_1) | instid1(SALU_CYCLE_1)
	s_cmp_lg_u32 s2, 0
	s_add_co_ci_u32 s23, s23, s27
	s_mul_u64 s[24:25], s[24:25], s[22:23]
	s_delay_alu instid0(SALU_CYCLE_1)
	s_mul_hi_u32 s27, s22, s25
	s_mul_i32 s26, s22, s25
	s_mul_hi_u32 s28, s22, s24
	s_mul_i32 s15, s23, s24
	s_add_nc_u64 s[26:27], s[28:29], s[26:27]
	s_mul_hi_u32 s2, s23, s24
	s_mul_hi_u32 s30, s23, s25
	s_add_co_u32 s15, s26, s15
	s_add_co_ci_u32 s28, s27, s2
	s_mul_i32 s24, s23, s25
	s_add_co_ci_u32 s25, s30, 0
	s_delay_alu instid0(SALU_CYCLE_1) | instskip(NEXT) | instid1(SALU_CYCLE_1)
	s_add_nc_u64 s[24:25], s[28:29], s[24:25]
	s_add_co_u32 s2, s22, s24
	s_cselect_b32 s15, -1, 0
	v_nop
	v_mul_hi_u32 v24, v16, s2
	s_cmp_lg_u32 s15, 0
	s_add_co_ci_u32 s28, s23, s25
	s_mov_b64 s[22:23], 0xffffffff
	v_mul_u64_e32 v[20:21], s[28:29], v[16:17]
	s_and_b64 s[22:23], s[2:3], s[22:23]
	v_mul_u64_e32 v[22:23], s[28:29], v[18:19]
	v_mul_u64_e32 v[12:13], s[22:23], v[18:19]
	s_delay_alu instid0(VALU_DEP_3) | instskip(NEXT) | instid1(VALU_DEP_1)
	v_add_nc_u64_e32 v[20:21], v[24:25], v[20:21]
	v_add_co_u32 v9, vcc_lo, v20, v12
	s_delay_alu instid0(VALU_DEP_2) | instskip(SKIP_1) | instid1(VALU_DEP_1)
	v_add_co_ci_u32_e32 v14, vcc_lo, v21, v13, vcc_lo
	v_add_co_ci_u32_e32 v23, vcc_lo, 0, v23, vcc_lo
	v_add_nc_u64_e32 v[12:13], v[14:15], v[22:23]
	s_delay_alu instid0(VALU_DEP_1) | instskip(NEXT) | instid1(VALU_DEP_1)
	v_mul_u64_e32 v[14:15], s[20:21], v[12:13]
	v_sub_nc_u32_e32 v9, v18, v15
	s_delay_alu instid0(VALU_DEP_2) | instskip(NEXT) | instid1(VALU_DEP_1)
	v_sub_co_u32 v14, vcc_lo, v16, v14
	v_sub_co_ci_u32_e64 v18, null, v18, v15, vcc_lo
	s_delay_alu instid0(VALU_DEP_3) | instskip(NEXT) | instid1(VALU_DEP_3)
	v_subrev_co_ci_u32_e64 v9, null, s21, v9, vcc_lo
	v_sub_co_u32 v16, s2, v14, s20
	s_delay_alu instid0(VALU_DEP_1) | instskip(NEXT) | instid1(VALU_DEP_2)
	v_subrev_co_ci_u32_e64 v9, null, 0, v9, s2
	v_cmp_le_u32_e32 vcc_lo, s20, v16
	v_cndmask_b32_e64 v15, 0, -1, vcc_lo
	s_delay_alu instid0(VALU_DEP_3)
	v_cmp_le_u32_e32 vcc_lo, s21, v9
	v_cndmask_b32_e64 v16, 0, -1, vcc_lo
	v_cmp_le_u32_e32 vcc_lo, s20, v14
	v_cndmask_b32_e64 v19, 0, -1, vcc_lo
	;; [unrolled: 2-line block ×3, first 2 shown]
	v_cmp_eq_u32_e32 vcc_lo, s21, v9
	v_cndmask_b32_e32 v9, v16, v15, vcc_lo
	v_cmp_eq_u32_e32 vcc_lo, s21, v18
	v_add_nc_u64_e32 v[14:15], 2, v[12:13]
	v_add_nc_u64_e32 v[16:17], 1, v[12:13]
	v_cndmask_b32_e32 v18, v20, v19, vcc_lo
	v_cmp_ne_u32_e32 vcc_lo, 0, v9
	s_delay_alu instid0(VALU_DEP_2) | instskip(NEXT) | instid1(VALU_DEP_4)
	v_cmp_ne_u32_e64 s2, 0, v18
	v_dual_cndmask_b32 v14, v16, v14 :: v_dual_cndmask_b32 v9, v17, v15
	s_delay_alu instid0(VALU_DEP_1) | instskip(SKIP_1) | instid1(VALU_DEP_2)
	v_dual_cndmask_b32 v12, v12, v14, s2 :: v_dual_cndmask_b32 v13, v13, v9, s2
	v_mov_b32_e32 v9, v8
	v_xor_b32_e32 v12, v12, v8
	s_delay_alu instid0(VALU_DEP_3) | instskip(NEXT) | instid1(VALU_DEP_1)
	v_xor_b32_e32 v13, v13, v8
	v_sub_nc_u64_e32 v[12:13], v[12:13], v[8:9]
.LBB3_15:
	s_and_not1_saveexec_b32 s2, s3
	s_cbranch_execz .LBB3_17
; %bb.16:
	v_cvt_f32_u32_e32 v8, s12
	s_sub_co_i32 s3, 0, s12
	s_delay_alu instid0(VALU_DEP_1) | instskip(SKIP_1) | instid1(TRANS32_DEP_1)
	v_rcp_iflag_f32_e32 v8, v8
	v_nop
	v_mul_f32_e32 v8, 0x4f7ffffe, v8
	s_delay_alu instid0(VALU_DEP_1) | instskip(NEXT) | instid1(VALU_DEP_1)
	v_cvt_u32_f32_e32 v8, v8
	v_mul_lo_u32 v9, s3, v8
	s_delay_alu instid0(VALU_DEP_1) | instskip(NEXT) | instid1(VALU_DEP_1)
	v_mul_hi_u32 v9, v8, v9
	v_add_nc_u32_e32 v8, v8, v9
	s_delay_alu instid0(VALU_DEP_1) | instskip(NEXT) | instid1(VALU_DEP_1)
	v_mul_hi_u32 v8, v4, v8
	v_mul_lo_u32 v9, v8, s12
	s_delay_alu instid0(VALU_DEP_1) | instskip(NEXT) | instid1(VALU_DEP_1)
	v_sub_nc_u32_e32 v9, v4, v9
	v_subrev_nc_u32_e32 v13, s12, v9
	v_cmp_le_u32_e32 vcc_lo, s12, v9
	s_delay_alu instid0(VALU_DEP_2) | instskip(NEXT) | instid1(VALU_DEP_1)
	v_dual_cndmask_b32 v9, v9, v13 :: v_dual_add_nc_u32 v12, 1, v8
	v_dual_cndmask_b32 v8, v8, v12 :: v_dual_mov_b32 v13, 0
	s_delay_alu instid0(VALU_DEP_2) | instskip(NEXT) | instid1(VALU_DEP_2)
	v_cmp_le_u32_e32 vcc_lo, s12, v9
	v_add_nc_u32_e32 v12, 1, v8
	s_delay_alu instid0(VALU_DEP_1)
	v_cndmask_b32_e32 v12, v8, v12, vcc_lo
.LBB3_17:
	s_or_b32 exec_lo, exec_lo, s2
	s_delay_alu instid0(VALU_DEP_1) | instskip(SKIP_2) | instid1(VALU_DEP_2)
	v_mul_u64_e32 v[8:9], s[12:13], v[12:13]
	s_mov_b32 s2, exec_lo
	v_mov_b32_e32 v14, 0
	v_sub_nc_u64_e32 v[8:9], v[4:5], v[8:9]
                                        ; implicit-def: $vgpr4_vgpr5
	s_delay_alu instid0(VALU_DEP_1) | instskip(NEXT) | instid1(VALU_DEP_1)
	v_or_b32_e32 v15, s9, v9
	v_cmpx_ne_u64_e32 0, v[14:15]
	s_xor_b32 s3, exec_lo, s2
	s_cbranch_execz .LBB3_19
; %bb.18:
	s_ashr_i32 s12, s9, 31
	s_mov_b32 s27, 0
	s_mov_b32 s13, s12
	v_dual_mov_b32 v19, v14 :: v_dual_ashrrev_i32 v4, 31, v9
	s_add_nc_u64 s[14:15], s[8:9], s[12:13]
	v_mov_b32_e32 v21, v14
	s_xor_b64 s[14:15], s[14:15], s[12:13]
	s_delay_alu instid0(VALU_DEP_2)
	v_mov_b32_e32 v5, v4
	s_cvt_f32_u32 s2, s14
	s_cvt_f32_u32 s13, s15
	s_sub_nc_u64 s[22:23], 0, s[14:15]
	v_mov_b32_e32 v27, v14
	v_add_nc_u64_e32 v[16:17], v[8:9], v[4:5]
	s_fmamk_f32 s2, s13, 0x4f800000, s2
	v_mov_b32_e32 v15, v14
	s_delay_alu instid0(SALU_CYCLE_2) | instskip(NEXT) | instid1(VALU_DEP_2)
	v_s_rcp_f32 s2, s2
	v_xor_b32_e32 v18, v16, v4
	s_delay_alu instid0(VALU_DEP_3) | instskip(SKIP_1) | instid1(TRANS32_DEP_1)
	v_xor_b32_e32 v20, v17, v4
	v_xor_b32_e32 v4, s12, v4
	s_mul_f32 s2, s2, 0x5f7ffffc
	s_delay_alu instid0(SALU_CYCLE_3) | instskip(NEXT) | instid1(SALU_CYCLE_3)
	s_mul_f32 s13, s2, 0x2f800000
	s_trunc_f32 s13, s13
	s_delay_alu instid0(SALU_CYCLE_3) | instskip(SKIP_1) | instid1(SALU_CYCLE_2)
	s_fmamk_f32 s2, s13, 0xcf800000, s2
	s_cvt_u32_f32 s21, s13
	s_cvt_u32_f32 s20, s2
	s_delay_alu instid0(SALU_CYCLE_3) | instskip(NEXT) | instid1(SALU_CYCLE_1)
	s_mul_u64 s[24:25], s[22:23], s[20:21]
	s_mul_hi_u32 s29, s20, s25
	s_mul_i32 s28, s20, s25
	s_mul_hi_u32 s26, s20, s24
	s_mul_i32 s13, s21, s24
	s_add_nc_u64 s[28:29], s[26:27], s[28:29]
	s_mul_hi_u32 s2, s21, s24
	s_mul_hi_u32 s30, s21, s25
	s_add_co_u32 s13, s28, s13
	s_add_co_ci_u32 s26, s29, s2
	s_mul_i32 s24, s21, s25
	s_add_co_ci_u32 s25, s30, 0
	s_delay_alu instid0(SALU_CYCLE_1) | instskip(NEXT) | instid1(SALU_CYCLE_1)
	s_add_nc_u64 s[24:25], s[26:27], s[24:25]
	s_add_co_u32 s20, s20, s24
	s_cselect_b32 s2, -1, 0
	s_delay_alu instid0(SALU_CYCLE_1) | instskip(SKIP_1) | instid1(SALU_CYCLE_1)
	s_cmp_lg_u32 s2, 0
	s_add_co_ci_u32 s21, s21, s25
	s_mul_u64 s[22:23], s[22:23], s[20:21]
	s_delay_alu instid0(SALU_CYCLE_1)
	s_mul_hi_u32 s25, s20, s23
	s_mul_i32 s24, s20, s23
	s_mul_hi_u32 s26, s20, s22
	s_mul_i32 s13, s21, s22
	s_add_nc_u64 s[24:25], s[26:27], s[24:25]
	s_mul_hi_u32 s2, s21, s22
	s_mul_hi_u32 s28, s21, s23
	s_add_co_u32 s13, s24, s13
	s_add_co_ci_u32 s26, s25, s2
	s_mul_i32 s22, s21, s23
	s_add_co_ci_u32 s23, s28, 0
	s_delay_alu instid0(SALU_CYCLE_1) | instskip(NEXT) | instid1(SALU_CYCLE_1)
	s_add_nc_u64 s[22:23], s[26:27], s[22:23]
	s_add_co_u32 s2, s20, s22
	s_cselect_b32 s13, -1, 0
	v_mul_hi_u32 v26, v18, s2
	s_cmp_lg_u32 s13, 0
	s_add_co_ci_u32 s26, s21, s23
	s_mov_b64 s[20:21], 0xffffffff
	v_mul_u64_e32 v[22:23], s[26:27], v[18:19]
	s_and_b64 s[20:21], s[2:3], s[20:21]
	v_mul_u64_e32 v[24:25], s[26:27], v[20:21]
	v_mul_u64_e32 v[16:17], s[20:21], v[20:21]
	s_delay_alu instid0(VALU_DEP_3) | instskip(NEXT) | instid1(VALU_DEP_1)
	v_add_nc_u64_e32 v[22:23], v[26:27], v[22:23]
	v_add_co_u32 v5, vcc_lo, v22, v16
	s_delay_alu instid0(VALU_DEP_2) | instskip(SKIP_1) | instid1(VALU_DEP_1)
	v_add_co_ci_u32_e32 v14, vcc_lo, v23, v17, vcc_lo
	v_add_co_ci_u32_e32 v25, vcc_lo, 0, v25, vcc_lo
	v_add_nc_u64_e32 v[14:15], v[14:15], v[24:25]
	s_delay_alu instid0(VALU_DEP_1) | instskip(NEXT) | instid1(VALU_DEP_1)
	v_mul_u64_e32 v[16:17], s[14:15], v[14:15]
	v_sub_nc_u32_e32 v5, v20, v17
	s_delay_alu instid0(VALU_DEP_2) | instskip(NEXT) | instid1(VALU_DEP_1)
	v_sub_co_u32 v16, vcc_lo, v18, v16
	v_sub_co_ci_u32_e64 v20, null, v20, v17, vcc_lo
	s_delay_alu instid0(VALU_DEP_3) | instskip(NEXT) | instid1(VALU_DEP_3)
	v_subrev_co_ci_u32_e64 v5, null, s15, v5, vcc_lo
	v_sub_co_u32 v18, s2, v16, s14
	s_delay_alu instid0(VALU_DEP_1) | instskip(NEXT) | instid1(VALU_DEP_2)
	v_subrev_co_ci_u32_e64 v5, null, 0, v5, s2
	v_cmp_le_u32_e32 vcc_lo, s14, v18
	v_cndmask_b32_e64 v17, 0, -1, vcc_lo
	s_delay_alu instid0(VALU_DEP_3)
	v_cmp_le_u32_e32 vcc_lo, s15, v5
	v_cndmask_b32_e64 v18, 0, -1, vcc_lo
	v_cmp_le_u32_e32 vcc_lo, s14, v16
	v_cndmask_b32_e64 v21, 0, -1, vcc_lo
	;; [unrolled: 2-line block ×3, first 2 shown]
	v_cmp_eq_u32_e32 vcc_lo, s15, v5
	v_cndmask_b32_e32 v5, v18, v17, vcc_lo
	v_cmp_eq_u32_e32 vcc_lo, s15, v20
	v_add_nc_u64_e32 v[16:17], 2, v[14:15]
	v_add_nc_u64_e32 v[18:19], 1, v[14:15]
	v_cndmask_b32_e32 v20, v22, v21, vcc_lo
	v_cmp_ne_u32_e32 vcc_lo, 0, v5
	s_delay_alu instid0(VALU_DEP_2) | instskip(NEXT) | instid1(VALU_DEP_4)
	v_cmp_ne_u32_e64 s2, 0, v20
	v_dual_cndmask_b32 v16, v18, v16 :: v_dual_cndmask_b32 v5, v19, v17
	s_delay_alu instid0(VALU_DEP_1) | instskip(NEXT) | instid1(VALU_DEP_1)
	v_dual_cndmask_b32 v14, v14, v16, s2 :: v_dual_cndmask_b32 v15, v15, v5, s2
	v_dual_mov_b32 v5, v4 :: v_dual_bitop2_b32 v14, v14, v4 bitop3:0x14
	s_delay_alu instid0(VALU_DEP_2) | instskip(NEXT) | instid1(VALU_DEP_1)
	v_xor_b32_e32 v15, v15, v4
	v_sub_nc_u64_e32 v[4:5], v[14:15], v[4:5]
.LBB3_19:
	s_and_not1_saveexec_b32 s2, s3
	s_cbranch_execz .LBB3_21
; %bb.20:
	v_cvt_f32_u32_e32 v4, s8
	s_sub_co_i32 s3, 0, s8
	s_delay_alu instid0(VALU_DEP_1) | instskip(SKIP_1) | instid1(TRANS32_DEP_1)
	v_rcp_iflag_f32_e32 v4, v4
	v_nop
	v_mul_f32_e32 v4, 0x4f7ffffe, v4
	s_delay_alu instid0(VALU_DEP_1) | instskip(NEXT) | instid1(VALU_DEP_1)
	v_cvt_u32_f32_e32 v4, v4
	v_mul_lo_u32 v5, s3, v4
	s_delay_alu instid0(VALU_DEP_1) | instskip(NEXT) | instid1(VALU_DEP_1)
	v_mul_hi_u32 v5, v4, v5
	v_add_nc_u32_e32 v4, v4, v5
	s_delay_alu instid0(VALU_DEP_1) | instskip(NEXT) | instid1(VALU_DEP_1)
	v_mul_hi_u32 v4, v8, v4
	v_mul_lo_u32 v5, v4, s8
	s_delay_alu instid0(VALU_DEP_1) | instskip(NEXT) | instid1(VALU_DEP_1)
	v_dual_add_nc_u32 v14, 1, v4 :: v_dual_sub_nc_u32 v5, v8, v5
	v_subrev_nc_u32_e32 v15, s8, v5
	v_cmp_le_u32_e32 vcc_lo, s8, v5
	s_delay_alu instid0(VALU_DEP_2) | instskip(NEXT) | instid1(VALU_DEP_1)
	v_dual_cndmask_b32 v5, v5, v15 :: v_dual_cndmask_b32 v4, v4, v14
	v_cmp_le_u32_e32 vcc_lo, s8, v5
	s_delay_alu instid0(VALU_DEP_2) | instskip(NEXT) | instid1(VALU_DEP_1)
	v_dual_mov_b32 v5, 0 :: v_dual_add_nc_u32 v14, 1, v4
	v_cndmask_b32_e32 v4, v4, v14, vcc_lo
.LBB3_21:
	s_or_b32 exec_lo, exec_lo, s2
	s_delay_alu instid0(VALU_DEP_1) | instskip(SKIP_1) | instid1(VALU_DEP_1)
	v_mul_u64_e32 v[14:15], s[8:9], v[4:5]
                                        ; implicit-def: $vgpr16_vgpr17
	s_mov_b32 s2, exec_lo
	v_sub_nc_u64_e32 v[8:9], v[8:9], v[14:15]
	s_delay_alu instid0(VALU_DEP_1) | instskip(NEXT) | instid1(VALU_DEP_1)
	v_dual_mov_b32 v14, 0 :: v_dual_bitop2_b32 v15, s41, v9 bitop3:0x54
	v_cmpx_ne_u64_e32 0, v[14:15]
	s_xor_b32 s3, exec_lo, s2
	s_cbranch_execz .LBB3_23
; %bb.22:
	s_ashr_i32 s8, s41, 31
	s_mov_b32 s25, 0
	s_mov_b32 s9, s8
	v_dual_mov_b32 v21, v14 :: v_dual_ashrrev_i32 v16, 31, v9
	s_add_nc_u64 s[12:13], s[40:41], s[8:9]
	v_dual_mov_b32 v29, v14 :: v_dual_mov_b32 v15, v14
	s_xor_b64 s[12:13], s[12:13], s[8:9]
	s_delay_alu instid0(VALU_DEP_2) | instskip(SKIP_3) | instid1(VALU_DEP_1)
	v_mov_b32_e32 v17, v16
	s_cvt_f32_u32 s2, s12
	s_cvt_f32_u32 s9, s13
	s_sub_nc_u64 s[20:21], 0, s[12:13]
	v_add_nc_u64_e32 v[18:19], v[8:9], v[16:17]
	s_delay_alu instid0(SALU_CYCLE_1) | instskip(SKIP_1) | instid1(SALU_CYCLE_2)
	s_fmamk_f32 s2, s9, 0x4f800000, s2
	v_mov_b32_e32 v23, v14
	v_s_rcp_f32 s2, s2
	s_delay_alu instid0(VALU_DEP_2) | instskip(NEXT) | instid1(VALU_DEP_3)
	v_xor_b32_e32 v20, v18, v16
	v_xor_b32_e32 v22, v19, v16
	v_xor_b32_e32 v16, s8, v16
	s_delay_alu instid0(TRANS32_DEP_1) | instskip(NEXT) | instid1(SALU_CYCLE_3)
	s_mul_f32 s2, s2, 0x5f7ffffc
	s_mul_f32 s9, s2, 0x2f800000
	s_delay_alu instid0(SALU_CYCLE_3) | instskip(NEXT) | instid1(SALU_CYCLE_3)
	s_trunc_f32 s9, s9
	s_fmamk_f32 s2, s9, 0xcf800000, s2
	s_cvt_u32_f32 s15, s9
	s_delay_alu instid0(SALU_CYCLE_2) | instskip(NEXT) | instid1(SALU_CYCLE_3)
	s_cvt_u32_f32 s14, s2
	s_mul_u64 s[22:23], s[20:21], s[14:15]
	s_delay_alu instid0(SALU_CYCLE_1)
	s_mul_hi_u32 s27, s14, s23
	s_mul_i32 s26, s14, s23
	s_mul_hi_u32 s24, s14, s22
	s_mul_i32 s9, s15, s22
	s_add_nc_u64 s[26:27], s[24:25], s[26:27]
	s_mul_hi_u32 s2, s15, s22
	s_mul_hi_u32 s28, s15, s23
	s_add_co_u32 s9, s26, s9
	s_add_co_ci_u32 s24, s27, s2
	s_mul_i32 s22, s15, s23
	s_add_co_ci_u32 s23, s28, 0
	s_delay_alu instid0(SALU_CYCLE_1) | instskip(NEXT) | instid1(SALU_CYCLE_1)
	s_add_nc_u64 s[22:23], s[24:25], s[22:23]
	s_add_co_u32 s14, s14, s22
	s_cselect_b32 s2, -1, 0
	s_delay_alu instid0(SALU_CYCLE_1) | instskip(SKIP_1) | instid1(SALU_CYCLE_1)
	s_cmp_lg_u32 s2, 0
	s_add_co_ci_u32 s15, s15, s23
	s_mul_u64 s[20:21], s[20:21], s[14:15]
	s_delay_alu instid0(SALU_CYCLE_1)
	s_mul_hi_u32 s23, s14, s21
	s_mul_i32 s22, s14, s21
	s_mul_hi_u32 s24, s14, s20
	s_mul_i32 s9, s15, s20
	s_add_nc_u64 s[22:23], s[24:25], s[22:23]
	s_mul_hi_u32 s2, s15, s20
	s_mul_hi_u32 s26, s15, s21
	s_add_co_u32 s9, s22, s9
	s_add_co_ci_u32 s24, s23, s2
	s_mul_i32 s20, s15, s21
	s_add_co_ci_u32 s21, s26, 0
	s_delay_alu instid0(SALU_CYCLE_1) | instskip(NEXT) | instid1(SALU_CYCLE_1)
	s_add_nc_u64 s[20:21], s[24:25], s[20:21]
	s_add_co_u32 s2, s14, s20
	s_cselect_b32 s9, -1, 0
	v_mul_hi_u32 v28, v20, s2
	s_cmp_lg_u32 s9, 0
	s_add_co_ci_u32 s24, s15, s21
	s_mov_b64 s[14:15], 0xffffffff
	v_mul_u64_e32 v[24:25], s[24:25], v[20:21]
	s_and_b64 s[14:15], s[2:3], s[14:15]
	v_mul_u64_e32 v[26:27], s[24:25], v[22:23]
	v_mul_u64_e32 v[18:19], s[14:15], v[22:23]
	s_delay_alu instid0(VALU_DEP_3) | instskip(NEXT) | instid1(VALU_DEP_1)
	v_add_nc_u64_e32 v[24:25], v[28:29], v[24:25]
	v_add_co_u32 v14, vcc_lo, v24, v18
	s_delay_alu instid0(VALU_DEP_2) | instskip(SKIP_1) | instid1(VALU_DEP_1)
	v_add_co_ci_u32_e32 v14, vcc_lo, v25, v19, vcc_lo
	v_add_co_ci_u32_e32 v27, vcc_lo, 0, v27, vcc_lo
	v_add_nc_u64_e32 v[14:15], v[14:15], v[26:27]
	s_delay_alu instid0(VALU_DEP_1) | instskip(NEXT) | instid1(VALU_DEP_1)
	v_mul_u64_e32 v[18:19], s[12:13], v[14:15]
	v_sub_nc_u32_e32 v17, v22, v19
	s_delay_alu instid0(VALU_DEP_2) | instskip(NEXT) | instid1(VALU_DEP_1)
	v_sub_co_u32 v18, vcc_lo, v20, v18
	v_sub_co_ci_u32_e64 v22, null, v22, v19, vcc_lo
	s_delay_alu instid0(VALU_DEP_3) | instskip(NEXT) | instid1(VALU_DEP_3)
	v_subrev_co_ci_u32_e64 v17, null, s13, v17, vcc_lo
	v_sub_co_u32 v20, s2, v18, s12
	s_delay_alu instid0(VALU_DEP_1) | instskip(NEXT) | instid1(VALU_DEP_2)
	v_subrev_co_ci_u32_e64 v17, null, 0, v17, s2
	v_cmp_le_u32_e32 vcc_lo, s12, v20
	v_cndmask_b32_e64 v19, 0, -1, vcc_lo
	s_delay_alu instid0(VALU_DEP_3)
	v_cmp_le_u32_e32 vcc_lo, s13, v17
	v_cndmask_b32_e64 v20, 0, -1, vcc_lo
	v_cmp_le_u32_e32 vcc_lo, s12, v18
	v_cndmask_b32_e64 v23, 0, -1, vcc_lo
	v_cmp_le_u32_e32 vcc_lo, s13, v22
	v_cndmask_b32_e64 v24, 0, -1, vcc_lo
	v_cmp_eq_u32_e32 vcc_lo, s13, v17
	v_cndmask_b32_e32 v17, v20, v19, vcc_lo
	v_cmp_eq_u32_e32 vcc_lo, s13, v22
	v_add_nc_u64_e32 v[18:19], 2, v[14:15]
	v_add_nc_u64_e32 v[20:21], 1, v[14:15]
	v_cndmask_b32_e32 v22, v24, v23, vcc_lo
	v_cmp_ne_u32_e32 vcc_lo, 0, v17
	s_delay_alu instid0(VALU_DEP_2) | instskip(NEXT) | instid1(VALU_DEP_4)
	v_cmp_ne_u32_e64 s2, 0, v22
	v_dual_cndmask_b32 v18, v20, v18 :: v_dual_cndmask_b32 v17, v21, v19
	s_delay_alu instid0(VALU_DEP_1) | instskip(NEXT) | instid1(VALU_DEP_1)
	v_dual_cndmask_b32 v14, v14, v18, s2 :: v_dual_cndmask_b32 v15, v15, v17, s2
	v_dual_mov_b32 v17, v16 :: v_dual_bitop2_b32 v14, v14, v16 bitop3:0x14
	s_delay_alu instid0(VALU_DEP_2) | instskip(NEXT) | instid1(VALU_DEP_1)
	v_xor_b32_e32 v15, v15, v16
	v_sub_nc_u64_e32 v[16:17], v[14:15], v[16:17]
.LBB3_23:
	s_and_not1_saveexec_b32 s2, s3
	s_cbranch_execz .LBB3_25
; %bb.24:
	v_cvt_f32_u32_e32 v14, s40
	s_sub_co_i32 s3, 0, s40
	s_delay_alu instid0(VALU_DEP_1) | instskip(SKIP_1) | instid1(TRANS32_DEP_1)
	v_rcp_iflag_f32_e32 v14, v14
	v_nop
	v_mul_f32_e32 v14, 0x4f7ffffe, v14
	s_delay_alu instid0(VALU_DEP_1) | instskip(NEXT) | instid1(VALU_DEP_1)
	v_cvt_u32_f32_e32 v14, v14
	v_mul_lo_u32 v15, s3, v14
	s_delay_alu instid0(VALU_DEP_1) | instskip(NEXT) | instid1(VALU_DEP_1)
	v_mul_hi_u32 v15, v14, v15
	v_add_nc_u32_e32 v14, v14, v15
	s_delay_alu instid0(VALU_DEP_1) | instskip(NEXT) | instid1(VALU_DEP_1)
	v_mul_hi_u32 v14, v8, v14
	v_mul_lo_u32 v15, v14, s40
	s_delay_alu instid0(VALU_DEP_1) | instskip(NEXT) | instid1(VALU_DEP_1)
	v_dual_add_nc_u32 v16, 1, v14 :: v_dual_sub_nc_u32 v15, v8, v15
	v_subrev_nc_u32_e32 v17, s40, v15
	v_cmp_le_u32_e32 vcc_lo, s40, v15
	s_delay_alu instid0(VALU_DEP_2) | instskip(NEXT) | instid1(VALU_DEP_4)
	v_dual_cndmask_b32 v15, v15, v17, vcc_lo :: v_dual_mov_b32 v17, 0
	v_cndmask_b32_e32 v14, v14, v16, vcc_lo
	s_delay_alu instid0(VALU_DEP_2) | instskip(NEXT) | instid1(VALU_DEP_2)
	v_cmp_le_u32_e32 vcc_lo, s40, v15
	v_add_nc_u32_e32 v16, 1, v14
	s_delay_alu instid0(VALU_DEP_1)
	v_cndmask_b32_e32 v16, v14, v16, vcc_lo
.LBB3_25:
	s_or_b32 exec_lo, exec_lo, s2
	v_mul_u64_e32 v[14:15], s[10:11], v[10:11]
	s_load_b64 s[0:1], s[0:1], 0x80
	s_delay_alu instid0(VALU_DEP_1) | instskip(NEXT) | instid1(VALU_DEP_1)
	v_sub_nc_u64_e32 v[6:7], v[6:7], v[14:15]
	v_dual_mov_b32 v15, 0 :: v_dual_ashrrev_i32 v14, 31, v7
	s_delay_alu instid0(VALU_DEP_1) | instskip(NEXT) | instid1(VALU_DEP_1)
	v_lshrrev_b32_e32 v14, 27, v14
	v_add_nc_u64_e32 v[6:7], v[6:7], v[14:15]
	s_delay_alu instid0(VALU_DEP_1) | instskip(NEXT) | instid1(VALU_DEP_1)
	v_ashrrev_i64 v[6:7], 5, v[6:7]
	v_mad_nc_u64_u32 v[14:15], v6, s16, s[4:5]
	s_delay_alu instid0(VALU_DEP_1) | instskip(NEXT) | instid1(VALU_DEP_1)
	v_mad_u32 v7, v7, s16, v15
	v_mad_u32 v15, v6, s17, v7
	s_delay_alu instid0(VALU_DEP_1) | instskip(NEXT) | instid1(VALU_DEP_1)
	v_mad_nc_u64_u32 v[6:7], v10, s18, v[14:15]
	v_mad_u32 v7, v11, s18, v7
	s_delay_alu instid0(VALU_DEP_1) | instskip(NEXT) | instid1(VALU_DEP_1)
	v_mad_u32 v7, v10, s19, v7
	v_mad_nc_u64_u32 v[6:7], v2, s36, v[6:7]
	s_delay_alu instid0(VALU_DEP_1) | instskip(NEXT) | instid1(VALU_DEP_1)
	v_mad_u32 v3, v3, s36, v7
	v_mad_u32 v7, v2, s37, v3
	s_delay_alu instid0(VALU_DEP_1) | instskip(NEXT) | instid1(VALU_DEP_1)
	v_mad_nc_u64_u32 v[2:3], v0, s38, v[6:7]
	v_mad_u32 v1, v1, s38, v3
	s_delay_alu instid0(VALU_DEP_1)
	v_mad_u32 v3, v0, s39, v1
	v_mul_u64_e32 v[0:1], s[40:41], v[16:17]
	s_clause 0x1
	global_load_u8 v10, v[2:3], off offset:2
	global_load_u16 v11, v[2:3], off
	v_sub_nc_u64_e32 v[0:1], v[8:9], v[0:1]
	s_delay_alu instid0(VALU_DEP_1) | instskip(NEXT) | instid1(VALU_DEP_1)
	v_mad_nc_u64_u32 v[6:7], v0, s46, s[6:7]
	v_mad_u32 v1, v1, s46, v7
	s_delay_alu instid0(VALU_DEP_1) | instskip(NEXT) | instid1(VALU_DEP_1)
	v_mad_u32 v7, v0, s47, v1
	v_mad_nc_u64_u32 v[0:1], v16, s48, v[6:7]
	s_delay_alu instid0(VALU_DEP_1) | instskip(NEXT) | instid1(VALU_DEP_1)
	v_mad_u32 v1, v17, s48, v1
	v_mad_u32 v1, v16, s49, v1
	s_delay_alu instid0(VALU_DEP_1) | instskip(NEXT) | instid1(VALU_DEP_1)
	v_mad_nc_u64_u32 v[0:1], v4, s50, v[0:1]
	v_mad_u32 v1, v5, s50, v1
	s_delay_alu instid0(VALU_DEP_1) | instskip(SKIP_1) | instid1(VALU_DEP_1)
	v_mad_u32 v1, v4, s51, v1
	s_wait_kmcnt 0x0
	v_mad_nc_u64_u32 v[0:1], v12, s0, v[0:1]
	s_delay_alu instid0(VALU_DEP_1) | instskip(NEXT) | instid1(VALU_DEP_1)
	v_mad_u32 v1, v13, s0, v1
	v_mad_u32 v1, v12, s1, v1
	s_wait_loadcnt 0x1
	v_dual_lshrrev_b32 v5, 4, v10 :: v_dual_bitop2_b32 v4, 15, v10 bitop3:0x40
	s_wait_loadcnt 0x0
	v_cvt_f32_f16_e32 v6, v11
	s_delay_alu instid0(VALU_DEP_2) | instskip(NEXT) | instid1(VALU_DEP_1)
	v_add_nc_u32_e32 v4, -8, v4
	v_cvt_f32_i32_e32 v4, v4
	s_delay_alu instid0(VALU_DEP_1) | instskip(NEXT) | instid1(VALU_DEP_1)
	v_dual_mul_f32 v4, v6, v4 :: v_dual_add_nc_u32 v5, -8, v5
	v_cvt_f32_i32_e32 v5, v5
	s_delay_alu instid0(VALU_DEP_1)
	v_mul_f32_e32 v5, v6, v5
	s_clause 0x1
	global_store_b32 v[0:1], v4, off
	global_store_b32 v[0:1], v5, off offset:64
	s_clause 0x1
	global_load_u8 v4, v[2:3], off offset:3
	global_load_u16 v5, v[2:3], off
	s_wait_loadcnt 0x1
	v_dual_lshrrev_b32 v4, 4, v4 :: v_dual_bitop2_b32 v6, 15, v4 bitop3:0x40
	s_wait_loadcnt 0x0
	v_cvt_f32_f16_e32 v5, v5
	s_delay_alu instid0(VALU_DEP_2) | instskip(NEXT) | instid1(VALU_DEP_1)
	v_add_nc_u32_e32 v6, -8, v6
	v_cvt_f32_i32_e32 v6, v6
	s_delay_alu instid0(VALU_DEP_1) | instskip(NEXT) | instid1(VALU_DEP_1)
	v_dual_add_nc_u32 v4, -8, v4 :: v_dual_mul_f32 v6, v5, v6
	v_cvt_f32_i32_e32 v4, v4
	s_delay_alu instid0(VALU_DEP_1)
	v_mul_f32_e32 v4, v5, v4
	s_clause 0x1
	global_store_b32 v[0:1], v6, off offset:4
	global_store_b32 v[0:1], v4, off offset:68
	s_clause 0x1
	global_load_u8 v4, v[2:3], off offset:4
	global_load_u16 v5, v[2:3], off
	s_wait_loadcnt 0x1
	v_dual_lshrrev_b32 v4, 4, v4 :: v_dual_bitop2_b32 v6, 15, v4 bitop3:0x40
	s_wait_loadcnt 0x0
	v_cvt_f32_f16_e32 v5, v5
	s_delay_alu instid0(VALU_DEP_2) | instskip(NEXT) | instid1(VALU_DEP_1)
	v_add_nc_u32_e32 v6, -8, v6
	v_cvt_f32_i32_e32 v6, v6
	s_delay_alu instid0(VALU_DEP_1) | instskip(NEXT) | instid1(VALU_DEP_1)
	v_dual_add_nc_u32 v4, -8, v4 :: v_dual_mul_f32 v6, v5, v6
	v_cvt_f32_i32_e32 v4, v4
	s_delay_alu instid0(VALU_DEP_1)
	v_mul_f32_e32 v4, v5, v4
	s_clause 0x1
	global_store_b32 v[0:1], v6, off offset:8
	;; [unrolled: 18-line block ×14, first 2 shown]
	global_store_b32 v[0:1], v4, off offset:120
	s_clause 0x1
	global_load_u8 v4, v[2:3], off offset:17
	global_load_u16 v5, v[2:3], off
	s_wait_loadcnt 0x1
	s_wait_xcnt 0x0
	v_dual_lshrrev_b32 v3, 4, v4 :: v_dual_bitop2_b32 v2, 15, v4 bitop3:0x40
	s_wait_loadcnt 0x0
	v_cvt_f32_f16_e32 v4, v5
	s_delay_alu instid0(VALU_DEP_2) | instskip(NEXT) | instid1(VALU_DEP_1)
	v_add_nc_u32_e32 v2, -8, v2
	v_cvt_f32_i32_e32 v2, v2
	s_delay_alu instid0(VALU_DEP_1) | instskip(NEXT) | instid1(VALU_DEP_1)
	v_dual_mul_f32 v2, v4, v2 :: v_dual_add_nc_u32 v3, -8, v3
	v_cvt_f32_i32_e32 v3, v3
	s_delay_alu instid0(VALU_DEP_1)
	v_mul_f32_e32 v3, v4, v3
	s_clause 0x1
	global_store_b32 v[0:1], v2, off offset:60
	global_store_b32 v[0:1], v3, off offset:124
.LBB3_26:
	s_endpgm
	.section	.rodata,"a",@progbits
	.p2align	6, 0x0
	.amdhsa_kernel _ZL9cpy_q_f32IXadL_ZL14cpy_blck_q_f32IXadL_ZL15dequantize_q4_0PKvliR15HIP_vector_typeIfLj2EEEELi32EEvPKcPcEELi32EEvS7_S8_lllllllllllllll
		.amdhsa_group_segment_fixed_size 0
		.amdhsa_private_segment_fixed_size 0
		.amdhsa_kernarg_size 392
		.amdhsa_user_sgpr_count 2
		.amdhsa_user_sgpr_dispatch_ptr 0
		.amdhsa_user_sgpr_queue_ptr 0
		.amdhsa_user_sgpr_kernarg_segment_ptr 1
		.amdhsa_user_sgpr_dispatch_id 0
		.amdhsa_user_sgpr_kernarg_preload_length 0
		.amdhsa_user_sgpr_kernarg_preload_offset 0
		.amdhsa_user_sgpr_private_segment_size 0
		.amdhsa_wavefront_size32 1
		.amdhsa_uses_dynamic_stack 0
		.amdhsa_enable_private_segment 0
		.amdhsa_system_sgpr_workgroup_id_x 1
		.amdhsa_system_sgpr_workgroup_id_y 0
		.amdhsa_system_sgpr_workgroup_id_z 0
		.amdhsa_system_sgpr_workgroup_info 0
		.amdhsa_system_vgpr_workitem_id 0
		.amdhsa_next_free_vgpr 30
		.amdhsa_next_free_sgpr 52
		.amdhsa_named_barrier_count 0
		.amdhsa_reserve_vcc 1
		.amdhsa_float_round_mode_32 0
		.amdhsa_float_round_mode_16_64 0
		.amdhsa_float_denorm_mode_32 3
		.amdhsa_float_denorm_mode_16_64 3
		.amdhsa_fp16_overflow 0
		.amdhsa_memory_ordered 1
		.amdhsa_forward_progress 1
		.amdhsa_inst_pref_size 55
		.amdhsa_round_robin_scheduling 0
		.amdhsa_exception_fp_ieee_invalid_op 0
		.amdhsa_exception_fp_denorm_src 0
		.amdhsa_exception_fp_ieee_div_zero 0
		.amdhsa_exception_fp_ieee_overflow 0
		.amdhsa_exception_fp_ieee_underflow 0
		.amdhsa_exception_fp_ieee_inexact 0
		.amdhsa_exception_int_div_zero 0
	.end_amdhsa_kernel
	.section	.text._ZL9cpy_q_f32IXadL_ZL14cpy_blck_q_f32IXadL_ZL15dequantize_q4_0PKvliR15HIP_vector_typeIfLj2EEEELi32EEvPKcPcEELi32EEvS7_S8_lllllllllllllll,"axG",@progbits,_ZL9cpy_q_f32IXadL_ZL14cpy_blck_q_f32IXadL_ZL15dequantize_q4_0PKvliR15HIP_vector_typeIfLj2EEEELi32EEvPKcPcEELi32EEvS7_S8_lllllllllllllll,comdat
.Lfunc_end3:
	.size	_ZL9cpy_q_f32IXadL_ZL14cpy_blck_q_f32IXadL_ZL15dequantize_q4_0PKvliR15HIP_vector_typeIfLj2EEEELi32EEvPKcPcEELi32EEvS7_S8_lllllllllllllll, .Lfunc_end3-_ZL9cpy_q_f32IXadL_ZL14cpy_blck_q_f32IXadL_ZL15dequantize_q4_0PKvliR15HIP_vector_typeIfLj2EEEELi32EEvPKcPcEELi32EEvS7_S8_lllllllllllllll
                                        ; -- End function
	.set _ZL9cpy_q_f32IXadL_ZL14cpy_blck_q_f32IXadL_ZL15dequantize_q4_0PKvliR15HIP_vector_typeIfLj2EEEELi32EEvPKcPcEELi32EEvS7_S8_lllllllllllllll.num_vgpr, 30
	.set _ZL9cpy_q_f32IXadL_ZL14cpy_blck_q_f32IXadL_ZL15dequantize_q4_0PKvliR15HIP_vector_typeIfLj2EEEELi32EEvPKcPcEELi32EEvS7_S8_lllllllllllllll.num_agpr, 0
	.set _ZL9cpy_q_f32IXadL_ZL14cpy_blck_q_f32IXadL_ZL15dequantize_q4_0PKvliR15HIP_vector_typeIfLj2EEEELi32EEvPKcPcEELi32EEvS7_S8_lllllllllllllll.numbered_sgpr, 52
	.set _ZL9cpy_q_f32IXadL_ZL14cpy_blck_q_f32IXadL_ZL15dequantize_q4_0PKvliR15HIP_vector_typeIfLj2EEEELi32EEvPKcPcEELi32EEvS7_S8_lllllllllllllll.num_named_barrier, 0
	.set _ZL9cpy_q_f32IXadL_ZL14cpy_blck_q_f32IXadL_ZL15dequantize_q4_0PKvliR15HIP_vector_typeIfLj2EEEELi32EEvPKcPcEELi32EEvS7_S8_lllllllllllllll.private_seg_size, 0
	.set _ZL9cpy_q_f32IXadL_ZL14cpy_blck_q_f32IXadL_ZL15dequantize_q4_0PKvliR15HIP_vector_typeIfLj2EEEELi32EEvPKcPcEELi32EEvS7_S8_lllllllllllllll.uses_vcc, 1
	.set _ZL9cpy_q_f32IXadL_ZL14cpy_blck_q_f32IXadL_ZL15dequantize_q4_0PKvliR15HIP_vector_typeIfLj2EEEELi32EEvPKcPcEELi32EEvS7_S8_lllllllllllllll.uses_flat_scratch, 0
	.set _ZL9cpy_q_f32IXadL_ZL14cpy_blck_q_f32IXadL_ZL15dequantize_q4_0PKvliR15HIP_vector_typeIfLj2EEEELi32EEvPKcPcEELi32EEvS7_S8_lllllllllllllll.has_dyn_sized_stack, 0
	.set _ZL9cpy_q_f32IXadL_ZL14cpy_blck_q_f32IXadL_ZL15dequantize_q4_0PKvliR15HIP_vector_typeIfLj2EEEELi32EEvPKcPcEELi32EEvS7_S8_lllllllllllllll.has_recursion, 0
	.set _ZL9cpy_q_f32IXadL_ZL14cpy_blck_q_f32IXadL_ZL15dequantize_q4_0PKvliR15HIP_vector_typeIfLj2EEEELi32EEvPKcPcEELi32EEvS7_S8_lllllllllllllll.has_indirect_call, 0
	.section	.AMDGPU.csdata,"",@progbits
; Kernel info:
; codeLenInByte = 6932
; TotalNumSgprs: 54
; NumVgprs: 30
; ScratchSize: 0
; MemoryBound: 0
; FloatMode: 240
; IeeeMode: 1
; LDSByteSize: 0 bytes/workgroup (compile time only)
; SGPRBlocks: 0
; VGPRBlocks: 1
; NumSGPRsForWavesPerEU: 54
; NumVGPRsForWavesPerEU: 30
; NamedBarCnt: 0
; Occupancy: 16
; WaveLimiterHint : 0
; COMPUTE_PGM_RSRC2:SCRATCH_EN: 0
; COMPUTE_PGM_RSRC2:USER_SGPR: 2
; COMPUTE_PGM_RSRC2:TRAP_HANDLER: 0
; COMPUTE_PGM_RSRC2:TGID_X_EN: 1
; COMPUTE_PGM_RSRC2:TGID_Y_EN: 0
; COMPUTE_PGM_RSRC2:TGID_Z_EN: 0
; COMPUTE_PGM_RSRC2:TIDIG_COMP_CNT: 0
	.section	.text._ZL9cpy_f32_qIXadL_ZL17cpy_blck_f32_q4_1PKcPcEELi32EEvS1_S2_lllllllllllllll,"axG",@progbits,_ZL9cpy_f32_qIXadL_ZL17cpy_blck_f32_q4_1PKcPcEELi32EEvS1_S2_lllllllllllllll,comdat
	.globl	_ZL9cpy_f32_qIXadL_ZL17cpy_blck_f32_q4_1PKcPcEELi32EEvS1_S2_lllllllllllllll ; -- Begin function _ZL9cpy_f32_qIXadL_ZL17cpy_blck_f32_q4_1PKcPcEELi32EEvS1_S2_lllllllllllllll
	.p2align	8
	.type	_ZL9cpy_f32_qIXadL_ZL17cpy_blck_f32_q4_1PKcPcEELi32EEvS1_S2_lllllllllllllll,@function
_ZL9cpy_f32_qIXadL_ZL17cpy_blck_f32_q4_1PKcPcEELi32EEvS1_S2_lllllllllllllll: ; @_ZL9cpy_f32_qIXadL_ZL17cpy_blck_f32_q4_1PKcPcEELi32EEvS1_S2_lllllllllllllll
; %bb.0:
	s_load_b32 s2, s[0:1], 0x94
	s_bfe_u32 s3, ttmp6, 0x4000c
	v_mov_b32_e32 v2, 0
	s_add_co_i32 s3, s3, 1
	s_and_b32 s4, ttmp6, 15
	s_mul_i32 s3, ttmp9, s3
	s_getreg_b32 s5, hwreg(HW_REG_IB_STS2, 6, 4)
	v_mov_b32_e32 v1, v2
	s_add_co_i32 s3, s4, s3
	s_wait_kmcnt 0x0
	s_and_b32 s2, s2, 0xffff
	s_cmp_eq_u32 s5, 0
	s_load_b512 s[4:19], s[0:1], 0x0
	s_cselect_b32 s3, ttmp9, s3
	s_delay_alu instid0(SALU_CYCLE_1) | instskip(SKIP_1) | instid1(VALU_DEP_1)
	v_mad_nc_u64_u32 v[0:1], s2, s3, v[0:1]
	s_mov_b32 s2, exec_lo
	v_lshlrev_b64_e32 v[4:5], 5, v[0:1]
	s_wait_kmcnt 0x0
	s_delay_alu instid0(VALU_DEP_1)
	v_cmpx_gt_i64_e64 s[8:9], v[4:5]
	s_cbranch_execz .LBB4_26
; %bb.1:
	s_mul_u64 s[8:9], s[12:13], s[10:11]
                                        ; implicit-def: $vgpr0_vgpr1
	s_mov_b32 s2, exec_lo
	s_mul_u64 s[12:13], s[8:9], s[14:15]
	s_delay_alu instid0(SALU_CYCLE_1) | instskip(NEXT) | instid1(VALU_DEP_1)
	v_dual_ashrrev_i32 v8, 31, v5 :: v_dual_bitop2_b32 v3, s13, v5 bitop3:0x54
	v_cmpx_ne_u64_e32 0, v[2:3]
	s_xor_b32 s3, exec_lo, s2
	s_cbranch_execz .LBB4_3
; %bb.2:
	s_ashr_i32 s14, s13, 31
	s_mov_b32 s29, 0
	s_mov_b32 s15, s14
	v_dual_mov_b32 v9, v8 :: v_dual_mov_b32 v3, 0
	s_add_nc_u64 s[20:21], s[12:13], s[14:15]
	s_delay_alu instid0(SALU_CYCLE_1) | instskip(NEXT) | instid1(VALU_DEP_1)
	s_xor_b64 s[20:21], s[20:21], s[14:15]
	v_add_nc_u64_e32 v[0:1], v[4:5], v[8:9]
	s_cvt_f32_u32 s2, s20
	s_cvt_f32_u32 s15, s21
	s_sub_nc_u64 s[24:25], 0, s[20:21]
	v_dual_mov_b32 v7, v3 :: v_dual_mov_b32 v15, v3
	s_delay_alu instid0(SALU_CYCLE_1) | instskip(NEXT) | instid1(VALU_DEP_2)
	s_fmamk_f32 s2, s15, 0x4f800000, s2
	v_xor_b32_e32 v2, v0, v8
	v_xor_b32_e32 v6, v1, v8
	s_delay_alu instid0(SALU_CYCLE_1) | instskip(NEXT) | instid1(TRANS32_DEP_1)
	v_s_rcp_f32 s2, s2
	s_mul_f32 s2, s2, 0x5f7ffffc
	s_delay_alu instid0(SALU_CYCLE_3) | instskip(NEXT) | instid1(SALU_CYCLE_3)
	s_mul_f32 s15, s2, 0x2f800000
	s_trunc_f32 s15, s15
	s_delay_alu instid0(SALU_CYCLE_3) | instskip(SKIP_1) | instid1(SALU_CYCLE_2)
	s_fmamk_f32 s2, s15, 0xcf800000, s2
	s_cvt_u32_f32 s23, s15
	s_cvt_u32_f32 s22, s2
	s_delay_alu instid0(SALU_CYCLE_3) | instskip(NEXT) | instid1(SALU_CYCLE_1)
	s_mul_u64 s[26:27], s[24:25], s[22:23]
	s_mul_hi_u32 s31, s22, s27
	s_mul_i32 s30, s22, s27
	s_mul_hi_u32 s28, s22, s26
	s_mul_i32 s15, s23, s26
	s_add_nc_u64 s[30:31], s[28:29], s[30:31]
	s_mul_hi_u32 s2, s23, s26
	s_mul_hi_u32 s33, s23, s27
	s_add_co_u32 s15, s30, s15
	s_add_co_ci_u32 s28, s31, s2
	s_mul_i32 s26, s23, s27
	s_add_co_ci_u32 s27, s33, 0
	s_delay_alu instid0(SALU_CYCLE_1) | instskip(NEXT) | instid1(SALU_CYCLE_1)
	s_add_nc_u64 s[26:27], s[28:29], s[26:27]
	s_add_co_u32 s22, s22, s26
	s_cselect_b32 s2, -1, 0
	s_delay_alu instid0(SALU_CYCLE_1) | instskip(SKIP_1) | instid1(SALU_CYCLE_1)
	s_cmp_lg_u32 s2, 0
	s_add_co_ci_u32 s23, s23, s27
	s_mul_u64 s[24:25], s[24:25], s[22:23]
	s_delay_alu instid0(SALU_CYCLE_1)
	s_mul_hi_u32 s27, s22, s25
	s_mul_i32 s26, s22, s25
	s_mul_hi_u32 s28, s22, s24
	s_mul_i32 s15, s23, s24
	s_add_nc_u64 s[26:27], s[28:29], s[26:27]
	s_mul_hi_u32 s2, s23, s24
	s_mul_hi_u32 s30, s23, s25
	s_add_co_u32 s15, s26, s15
	s_add_co_ci_u32 s28, s27, s2
	s_mul_i32 s24, s23, s25
	s_add_co_ci_u32 s25, s30, 0
	s_delay_alu instid0(SALU_CYCLE_1) | instskip(NEXT) | instid1(SALU_CYCLE_1)
	s_add_nc_u64 s[24:25], s[28:29], s[24:25]
	s_add_co_u32 s2, s22, s24
	s_cselect_b32 s15, -1, 0
	v_nop
	v_mul_hi_u32 v14, v2, s2
	s_cmp_lg_u32 s15, 0
	s_add_co_ci_u32 s28, s23, s25
	s_mov_b64 s[22:23], 0xffffffff
	v_mul_u64_e32 v[10:11], s[28:29], v[2:3]
	s_and_b64 s[22:23], s[2:3], s[22:23]
	v_mul_u64_e32 v[12:13], s[28:29], v[6:7]
	v_mul_u64_e32 v[0:1], s[22:23], v[6:7]
	s_delay_alu instid0(VALU_DEP_3) | instskip(NEXT) | instid1(VALU_DEP_1)
	v_add_nc_u64_e32 v[10:11], v[14:15], v[10:11]
	v_add_co_u32 v0, vcc_lo, v10, v0
	s_delay_alu instid0(VALU_DEP_2) | instskip(SKIP_1) | instid1(VALU_DEP_1)
	v_add_co_ci_u32_e32 v14, vcc_lo, v11, v1, vcc_lo
	v_add_co_ci_u32_e32 v13, vcc_lo, 0, v13, vcc_lo
	v_add_nc_u64_e32 v[0:1], v[14:15], v[12:13]
	s_delay_alu instid0(VALU_DEP_1) | instskip(NEXT) | instid1(VALU_DEP_1)
	v_mul_u64_e32 v[10:11], s[20:21], v[0:1]
	v_sub_nc_u32_e32 v3, v6, v11
	s_delay_alu instid0(VALU_DEP_2) | instskip(NEXT) | instid1(VALU_DEP_1)
	v_sub_co_u32 v2, vcc_lo, v2, v10
	v_sub_co_ci_u32_e64 v9, null, v6, v11, vcc_lo
	s_delay_alu instid0(VALU_DEP_3) | instskip(NEXT) | instid1(VALU_DEP_3)
	v_subrev_co_ci_u32_e64 v3, null, s21, v3, vcc_lo
	v_sub_co_u32 v7, s2, v2, s20
	s_delay_alu instid0(VALU_DEP_1) | instskip(NEXT) | instid1(VALU_DEP_2)
	v_subrev_co_ci_u32_e64 v3, null, 0, v3, s2
	v_cmp_le_u32_e32 vcc_lo, s20, v7
	v_cndmask_b32_e64 v6, 0, -1, vcc_lo
	s_delay_alu instid0(VALU_DEP_3)
	v_cmp_le_u32_e32 vcc_lo, s21, v3
	v_cndmask_b32_e64 v7, 0, -1, vcc_lo
	v_cmp_le_u32_e32 vcc_lo, s20, v2
	v_cndmask_b32_e64 v10, 0, -1, vcc_lo
	v_cmp_le_u32_e32 vcc_lo, s21, v9
	v_cndmask_b32_e64 v11, 0, -1, vcc_lo
	v_cmp_eq_u32_e32 vcc_lo, s21, v3
	v_add_nc_u64_e32 v[2:3], 2, v[0:1]
	v_cndmask_b32_e32 v12, v7, v6, vcc_lo
	v_cmp_eq_u32_e32 vcc_lo, s21, v9
	v_add_nc_u64_e32 v[6:7], 1, v[0:1]
	v_cndmask_b32_e32 v9, v11, v10, vcc_lo
	s_delay_alu instid0(VALU_DEP_4) | instskip(NEXT) | instid1(VALU_DEP_3)
	v_cmp_ne_u32_e32 vcc_lo, 0, v12
	v_dual_cndmask_b32 v3, v7, v3 :: v_dual_cndmask_b32 v6, v6, v2
	v_xor_b32_e32 v2, s14, v8
	s_delay_alu instid0(VALU_DEP_4) | instskip(NEXT) | instid1(VALU_DEP_1)
	v_cmp_ne_u32_e64 s2, 0, v9
	v_dual_cndmask_b32 v1, v1, v3, s2 :: v_dual_cndmask_b32 v0, v0, v6, s2
	s_delay_alu instid0(VALU_DEP_1) | instskip(NEXT) | instid1(VALU_DEP_2)
	v_dual_mov_b32 v3, v2 :: v_dual_bitop2_b32 v1, v1, v2 bitop3:0x14
	v_xor_b32_e32 v0, v0, v2
	s_delay_alu instid0(VALU_DEP_1)
	v_sub_nc_u64_e32 v[0:1], v[0:1], v[2:3]
.LBB4_3:
	s_and_not1_saveexec_b32 s2, s3
	s_cbranch_execz .LBB4_5
; %bb.4:
	v_cvt_f32_u32_e32 v0, s12
	s_sub_co_i32 s3, 0, s12
	s_delay_alu instid0(VALU_DEP_1) | instskip(SKIP_1) | instid1(TRANS32_DEP_1)
	v_rcp_iflag_f32_e32 v0, v0
	v_nop
	v_mul_f32_e32 v0, 0x4f7ffffe, v0
	s_delay_alu instid0(VALU_DEP_1) | instskip(NEXT) | instid1(VALU_DEP_1)
	v_cvt_u32_f32_e32 v0, v0
	v_mul_lo_u32 v1, s3, v0
	s_delay_alu instid0(VALU_DEP_1) | instskip(NEXT) | instid1(VALU_DEP_1)
	v_mul_hi_u32 v1, v0, v1
	v_add_nc_u32_e32 v0, v0, v1
	s_delay_alu instid0(VALU_DEP_1) | instskip(NEXT) | instid1(VALU_DEP_1)
	v_mul_hi_u32 v0, v4, v0
	v_mul_lo_u32 v1, v0, s12
	s_delay_alu instid0(VALU_DEP_1) | instskip(NEXT) | instid1(VALU_DEP_1)
	v_dual_add_nc_u32 v2, 1, v0 :: v_dual_sub_nc_u32 v1, v4, v1
	v_subrev_nc_u32_e32 v3, s12, v1
	v_cmp_le_u32_e32 vcc_lo, s12, v1
	s_delay_alu instid0(VALU_DEP_2) | instskip(NEXT) | instid1(VALU_DEP_1)
	v_dual_cndmask_b32 v1, v1, v3 :: v_dual_cndmask_b32 v0, v0, v2
	v_cmp_le_u32_e32 vcc_lo, s12, v1
	s_delay_alu instid0(VALU_DEP_2) | instskip(NEXT) | instid1(VALU_DEP_1)
	v_dual_mov_b32 v1, 0 :: v_dual_add_nc_u32 v2, 1, v0
	v_cndmask_b32_e32 v0, v0, v2, vcc_lo
.LBB4_5:
	s_or_b32 exec_lo, exec_lo, s2
	s_delay_alu instid0(VALU_DEP_1) | instskip(SKIP_2) | instid1(VALU_DEP_2)
	v_mul_u64_e32 v[2:3], s[12:13], v[0:1]
	s_mov_b32 s2, exec_lo
	v_mov_b32_e32 v10, 0
	v_sub_nc_u64_e32 v[6:7], v[4:5], v[2:3]
                                        ; implicit-def: $vgpr2_vgpr3
	s_delay_alu instid0(VALU_DEP_1) | instskip(NEXT) | instid1(VALU_DEP_1)
	v_or_b32_e32 v11, s9, v7
	v_cmpx_ne_u64_e32 0, v[10:11]
	s_xor_b32 s3, exec_lo, s2
	s_cbranch_execz .LBB4_7
; %bb.6:
	s_ashr_i32 s12, s9, 31
	s_mov_b32 s27, 0
	s_mov_b32 s13, s12
	v_dual_mov_b32 v15, v10 :: v_dual_ashrrev_i32 v2, 31, v7
	s_add_nc_u64 s[14:15], s[8:9], s[12:13]
	v_dual_mov_b32 v23, v10 :: v_dual_mov_b32 v11, v10
	s_xor_b64 s[14:15], s[14:15], s[12:13]
	s_delay_alu instid0(VALU_DEP_2) | instskip(SKIP_3) | instid1(VALU_DEP_1)
	v_mov_b32_e32 v3, v2
	s_cvt_f32_u32 s2, s14
	s_cvt_f32_u32 s13, s15
	s_sub_nc_u64 s[22:23], 0, s[14:15]
	v_add_nc_u64_e32 v[12:13], v[6:7], v[2:3]
	s_delay_alu instid0(SALU_CYCLE_1) | instskip(SKIP_1) | instid1(SALU_CYCLE_2)
	s_fmamk_f32 s2, s13, 0x4f800000, s2
	v_mov_b32_e32 v17, v10
	v_s_rcp_f32 s2, s2
	s_delay_alu instid0(VALU_DEP_2) | instskip(NEXT) | instid1(VALU_DEP_3)
	v_xor_b32_e32 v14, v12, v2
	v_xor_b32_e32 v16, v13, v2
	;; [unrolled: 1-line block ×3, first 2 shown]
	s_delay_alu instid0(TRANS32_DEP_1) | instskip(NEXT) | instid1(SALU_CYCLE_3)
	s_mul_f32 s2, s2, 0x5f7ffffc
	s_mul_f32 s13, s2, 0x2f800000
	s_delay_alu instid0(SALU_CYCLE_3) | instskip(NEXT) | instid1(SALU_CYCLE_3)
	s_trunc_f32 s13, s13
	s_fmamk_f32 s2, s13, 0xcf800000, s2
	s_cvt_u32_f32 s21, s13
	s_delay_alu instid0(SALU_CYCLE_2) | instskip(NEXT) | instid1(SALU_CYCLE_3)
	s_cvt_u32_f32 s20, s2
	s_mul_u64 s[24:25], s[22:23], s[20:21]
	s_delay_alu instid0(SALU_CYCLE_1)
	s_mul_hi_u32 s29, s20, s25
	s_mul_i32 s28, s20, s25
	s_mul_hi_u32 s26, s20, s24
	s_mul_i32 s13, s21, s24
	s_add_nc_u64 s[28:29], s[26:27], s[28:29]
	s_mul_hi_u32 s2, s21, s24
	s_mul_hi_u32 s30, s21, s25
	s_add_co_u32 s13, s28, s13
	s_add_co_ci_u32 s26, s29, s2
	s_mul_i32 s24, s21, s25
	s_add_co_ci_u32 s25, s30, 0
	s_delay_alu instid0(SALU_CYCLE_1) | instskip(NEXT) | instid1(SALU_CYCLE_1)
	s_add_nc_u64 s[24:25], s[26:27], s[24:25]
	s_add_co_u32 s20, s20, s24
	s_cselect_b32 s2, -1, 0
	s_delay_alu instid0(SALU_CYCLE_1) | instskip(SKIP_1) | instid1(SALU_CYCLE_1)
	s_cmp_lg_u32 s2, 0
	s_add_co_ci_u32 s21, s21, s25
	s_mul_u64 s[22:23], s[22:23], s[20:21]
	s_delay_alu instid0(SALU_CYCLE_1)
	s_mul_hi_u32 s25, s20, s23
	s_mul_i32 s24, s20, s23
	s_mul_hi_u32 s26, s20, s22
	s_mul_i32 s13, s21, s22
	s_add_nc_u64 s[24:25], s[26:27], s[24:25]
	s_mul_hi_u32 s2, s21, s22
	s_mul_hi_u32 s28, s21, s23
	s_add_co_u32 s13, s24, s13
	s_add_co_ci_u32 s26, s25, s2
	s_mul_i32 s22, s21, s23
	s_add_co_ci_u32 s23, s28, 0
	s_delay_alu instid0(SALU_CYCLE_1) | instskip(NEXT) | instid1(SALU_CYCLE_1)
	s_add_nc_u64 s[22:23], s[26:27], s[22:23]
	s_add_co_u32 s2, s20, s22
	s_cselect_b32 s13, -1, 0
	v_mul_hi_u32 v22, v14, s2
	s_cmp_lg_u32 s13, 0
	s_add_co_ci_u32 s26, s21, s23
	s_mov_b64 s[20:21], 0xffffffff
	v_mul_u64_e32 v[18:19], s[26:27], v[14:15]
	s_and_b64 s[20:21], s[2:3], s[20:21]
	v_mul_u64_e32 v[20:21], s[26:27], v[16:17]
	v_mul_u64_e32 v[12:13], s[20:21], v[16:17]
	s_delay_alu instid0(VALU_DEP_3) | instskip(NEXT) | instid1(VALU_DEP_1)
	v_add_nc_u64_e32 v[18:19], v[22:23], v[18:19]
	v_add_co_u32 v3, vcc_lo, v18, v12
	s_delay_alu instid0(VALU_DEP_2) | instskip(SKIP_1) | instid1(VALU_DEP_1)
	v_add_co_ci_u32_e32 v10, vcc_lo, v19, v13, vcc_lo
	v_add_co_ci_u32_e32 v21, vcc_lo, 0, v21, vcc_lo
	v_add_nc_u64_e32 v[10:11], v[10:11], v[20:21]
	s_delay_alu instid0(VALU_DEP_1) | instskip(NEXT) | instid1(VALU_DEP_1)
	v_mul_u64_e32 v[12:13], s[14:15], v[10:11]
	v_sub_co_u32 v9, vcc_lo, v14, v12
	v_add_nc_u64_e32 v[14:15], 1, v[10:11]
	s_delay_alu instid0(VALU_DEP_3) | instskip(SKIP_1) | instid1(VALU_DEP_4)
	v_sub_nc_u32_e32 v3, v16, v13
	v_sub_co_ci_u32_e64 v16, null, v16, v13, vcc_lo
	v_sub_co_u32 v12, s2, v9, s14
	s_delay_alu instid0(VALU_DEP_3) | instskip(NEXT) | instid1(VALU_DEP_2)
	v_subrev_co_ci_u32_e64 v3, null, s15, v3, vcc_lo
	v_cmp_le_u32_e32 vcc_lo, s14, v12
	s_delay_alu instid0(VALU_DEP_2) | instskip(SKIP_1) | instid1(VALU_DEP_2)
	v_subrev_co_ci_u32_e64 v3, null, 0, v3, s2
	v_cndmask_b32_e64 v12, 0, -1, vcc_lo
	v_cmp_le_u32_e32 vcc_lo, s15, v3
	v_cndmask_b32_e64 v13, 0, -1, vcc_lo
	v_cmp_le_u32_e32 vcc_lo, s14, v9
	;; [unrolled: 2-line block ×3, first 2 shown]
	v_cndmask_b32_e64 v17, 0, -1, vcc_lo
	v_cmp_eq_u32_e32 vcc_lo, s15, v3
	v_cndmask_b32_e32 v3, v13, v12, vcc_lo
	v_cmp_eq_u32_e32 vcc_lo, s15, v16
	v_add_nc_u64_e32 v[12:13], 2, v[10:11]
	v_cndmask_b32_e32 v9, v17, v9, vcc_lo
	s_delay_alu instid0(VALU_DEP_4) | instskip(NEXT) | instid1(VALU_DEP_2)
	v_cmp_ne_u32_e32 vcc_lo, 0, v3
	v_cmp_ne_u32_e64 s2, 0, v9
	s_delay_alu instid0(VALU_DEP_4) | instskip(NEXT) | instid1(VALU_DEP_1)
	v_cndmask_b32_e32 v9, v14, v12, vcc_lo
	v_cndmask_b32_e64 v9, v10, v9, s2
	s_delay_alu instid0(VALU_DEP_1) | instskip(NEXT) | instid1(VALU_DEP_1)
	v_dual_cndmask_b32 v3, v15, v13, vcc_lo :: v_dual_bitop2_b32 v10, v9, v2 bitop3:0x14
	v_dual_cndmask_b32 v11, v11, v3, s2 :: v_dual_mov_b32 v3, v2
	s_delay_alu instid0(VALU_DEP_1) | instskip(NEXT) | instid1(VALU_DEP_1)
	v_xor_b32_e32 v11, v11, v2
	v_sub_nc_u64_e32 v[2:3], v[10:11], v[2:3]
.LBB4_7:
	s_and_not1_saveexec_b32 s2, s3
	s_cbranch_execz .LBB4_9
; %bb.8:
	v_cvt_f32_u32_e32 v2, s8
	s_sub_co_i32 s3, 0, s8
	s_delay_alu instid0(VALU_DEP_1) | instskip(SKIP_1) | instid1(TRANS32_DEP_1)
	v_rcp_iflag_f32_e32 v2, v2
	v_nop
	v_mul_f32_e32 v2, 0x4f7ffffe, v2
	s_delay_alu instid0(VALU_DEP_1) | instskip(NEXT) | instid1(VALU_DEP_1)
	v_cvt_u32_f32_e32 v2, v2
	v_mul_lo_u32 v3, s3, v2
	s_delay_alu instid0(VALU_DEP_1) | instskip(NEXT) | instid1(VALU_DEP_1)
	v_mul_hi_u32 v3, v2, v3
	v_add_nc_u32_e32 v2, v2, v3
	s_delay_alu instid0(VALU_DEP_1) | instskip(NEXT) | instid1(VALU_DEP_1)
	v_mul_hi_u32 v2, v6, v2
	v_mul_lo_u32 v3, v2, s8
	s_delay_alu instid0(VALU_DEP_1) | instskip(NEXT) | instid1(VALU_DEP_1)
	v_dual_add_nc_u32 v9, 1, v2 :: v_dual_sub_nc_u32 v3, v6, v3
	v_subrev_nc_u32_e32 v10, s8, v3
	v_cmp_le_u32_e32 vcc_lo, s8, v3
	s_delay_alu instid0(VALU_DEP_2) | instskip(NEXT) | instid1(VALU_DEP_1)
	v_dual_cndmask_b32 v3, v3, v10 :: v_dual_cndmask_b32 v2, v2, v9
	v_cmp_le_u32_e32 vcc_lo, s8, v3
	s_delay_alu instid0(VALU_DEP_2) | instskip(NEXT) | instid1(VALU_DEP_1)
	v_dual_add_nc_u32 v9, 1, v2 :: v_dual_mov_b32 v3, 0
	v_cndmask_b32_e32 v2, v2, v9, vcc_lo
.LBB4_9:
	s_or_b32 exec_lo, exec_lo, s2
	s_delay_alu instid0(VALU_DEP_1) | instskip(SKIP_2) | instid1(VALU_DEP_2)
	v_mul_u64_e32 v[10:11], s[8:9], v[2:3]
	s_mov_b32 s2, exec_lo
	v_mov_b32_e32 v12, 0
	v_sub_nc_u64_e32 v[6:7], v[6:7], v[10:11]
                                        ; implicit-def: $vgpr10_vgpr11
	s_delay_alu instid0(VALU_DEP_1) | instskip(NEXT) | instid1(VALU_DEP_1)
	v_or_b32_e32 v13, s11, v7
	v_cmpx_ne_u64_e32 0, v[12:13]
	s_xor_b32 s3, exec_lo, s2
	s_cbranch_execz .LBB4_11
; %bb.10:
	s_ashr_i32 s8, s11, 31
	s_mov_b32 s25, 0
	s_mov_b32 s9, s8
	v_dual_mov_b32 v17, v12 :: v_dual_ashrrev_i32 v10, 31, v7
	s_add_nc_u64 s[12:13], s[10:11], s[8:9]
	v_mov_b32_e32 v19, v12
	s_xor_b64 s[12:13], s[12:13], s[8:9]
	s_delay_alu instid0(VALU_DEP_2)
	v_mov_b32_e32 v11, v10
	s_cvt_f32_u32 s2, s12
	s_cvt_f32_u32 s9, s13
	s_sub_nc_u64 s[20:21], 0, s[12:13]
	v_mov_b32_e32 v25, v12
	v_add_nc_u64_e32 v[14:15], v[6:7], v[10:11]
	s_fmamk_f32 s2, s9, 0x4f800000, s2
	v_mov_b32_e32 v13, v12
	s_delay_alu instid0(SALU_CYCLE_2) | instskip(NEXT) | instid1(VALU_DEP_2)
	v_s_rcp_f32 s2, s2
	v_xor_b32_e32 v16, v14, v10
	s_delay_alu instid0(VALU_DEP_3) | instskip(SKIP_1) | instid1(TRANS32_DEP_1)
	v_xor_b32_e32 v18, v15, v10
	v_xor_b32_e32 v10, s8, v10
	s_mul_f32 s2, s2, 0x5f7ffffc
	s_delay_alu instid0(SALU_CYCLE_3) | instskip(NEXT) | instid1(SALU_CYCLE_3)
	s_mul_f32 s9, s2, 0x2f800000
	s_trunc_f32 s9, s9
	s_delay_alu instid0(SALU_CYCLE_3) | instskip(SKIP_1) | instid1(SALU_CYCLE_2)
	s_fmamk_f32 s2, s9, 0xcf800000, s2
	s_cvt_u32_f32 s15, s9
	s_cvt_u32_f32 s14, s2
	s_delay_alu instid0(SALU_CYCLE_3) | instskip(NEXT) | instid1(SALU_CYCLE_1)
	s_mul_u64 s[22:23], s[20:21], s[14:15]
	s_mul_hi_u32 s27, s14, s23
	s_mul_i32 s26, s14, s23
	s_mul_hi_u32 s24, s14, s22
	s_mul_i32 s9, s15, s22
	s_add_nc_u64 s[26:27], s[24:25], s[26:27]
	s_mul_hi_u32 s2, s15, s22
	s_mul_hi_u32 s28, s15, s23
	s_add_co_u32 s9, s26, s9
	s_add_co_ci_u32 s24, s27, s2
	s_mul_i32 s22, s15, s23
	s_add_co_ci_u32 s23, s28, 0
	s_delay_alu instid0(SALU_CYCLE_1) | instskip(NEXT) | instid1(SALU_CYCLE_1)
	s_add_nc_u64 s[22:23], s[24:25], s[22:23]
	s_add_co_u32 s14, s14, s22
	s_cselect_b32 s2, -1, 0
	s_delay_alu instid0(SALU_CYCLE_1) | instskip(SKIP_1) | instid1(SALU_CYCLE_1)
	s_cmp_lg_u32 s2, 0
	s_add_co_ci_u32 s15, s15, s23
	s_mul_u64 s[20:21], s[20:21], s[14:15]
	s_delay_alu instid0(SALU_CYCLE_1)
	s_mul_hi_u32 s23, s14, s21
	s_mul_i32 s22, s14, s21
	s_mul_hi_u32 s24, s14, s20
	s_mul_i32 s9, s15, s20
	s_add_nc_u64 s[22:23], s[24:25], s[22:23]
	s_mul_hi_u32 s2, s15, s20
	s_mul_hi_u32 s26, s15, s21
	s_add_co_u32 s9, s22, s9
	s_add_co_ci_u32 s24, s23, s2
	s_mul_i32 s20, s15, s21
	s_add_co_ci_u32 s21, s26, 0
	s_delay_alu instid0(SALU_CYCLE_1) | instskip(NEXT) | instid1(SALU_CYCLE_1)
	s_add_nc_u64 s[20:21], s[24:25], s[20:21]
	s_add_co_u32 s2, s14, s20
	s_cselect_b32 s9, -1, 0
	v_mul_hi_u32 v24, v16, s2
	s_cmp_lg_u32 s9, 0
	s_add_co_ci_u32 s24, s15, s21
	s_mov_b64 s[14:15], 0xffffffff
	v_mul_u64_e32 v[20:21], s[24:25], v[16:17]
	s_and_b64 s[14:15], s[2:3], s[14:15]
	v_mul_u64_e32 v[22:23], s[24:25], v[18:19]
	v_mul_u64_e32 v[14:15], s[14:15], v[18:19]
	s_delay_alu instid0(VALU_DEP_3) | instskip(NEXT) | instid1(VALU_DEP_1)
	v_add_nc_u64_e32 v[20:21], v[24:25], v[20:21]
	v_add_co_u32 v9, vcc_lo, v20, v14
	s_delay_alu instid0(VALU_DEP_2) | instskip(SKIP_1) | instid1(VALU_DEP_1)
	v_add_co_ci_u32_e32 v12, vcc_lo, v21, v15, vcc_lo
	v_add_co_ci_u32_e32 v23, vcc_lo, 0, v23, vcc_lo
	v_add_nc_u64_e32 v[12:13], v[12:13], v[22:23]
	s_delay_alu instid0(VALU_DEP_1) | instskip(NEXT) | instid1(VALU_DEP_1)
	v_mul_u64_e32 v[14:15], s[12:13], v[12:13]
	v_sub_co_u32 v11, vcc_lo, v16, v14
	v_add_nc_u64_e32 v[16:17], 1, v[12:13]
	s_delay_alu instid0(VALU_DEP_3) | instskip(SKIP_1) | instid1(VALU_DEP_4)
	v_sub_nc_u32_e32 v9, v18, v15
	v_sub_co_ci_u32_e64 v18, null, v18, v15, vcc_lo
	v_sub_co_u32 v14, s2, v11, s12
	s_delay_alu instid0(VALU_DEP_3) | instskip(NEXT) | instid1(VALU_DEP_2)
	v_subrev_co_ci_u32_e64 v9, null, s13, v9, vcc_lo
	v_cmp_le_u32_e32 vcc_lo, s12, v14
	s_delay_alu instid0(VALU_DEP_2) | instskip(SKIP_1) | instid1(VALU_DEP_2)
	v_subrev_co_ci_u32_e64 v9, null, 0, v9, s2
	v_cndmask_b32_e64 v14, 0, -1, vcc_lo
	v_cmp_le_u32_e32 vcc_lo, s13, v9
	v_cndmask_b32_e64 v15, 0, -1, vcc_lo
	v_cmp_le_u32_e32 vcc_lo, s12, v11
	;; [unrolled: 2-line block ×3, first 2 shown]
	v_cndmask_b32_e64 v19, 0, -1, vcc_lo
	v_cmp_eq_u32_e32 vcc_lo, s13, v9
	v_cndmask_b32_e32 v9, v15, v14, vcc_lo
	v_cmp_eq_u32_e32 vcc_lo, s13, v18
	v_add_nc_u64_e32 v[14:15], 2, v[12:13]
	v_cndmask_b32_e32 v11, v19, v11, vcc_lo
	s_delay_alu instid0(VALU_DEP_4) | instskip(NEXT) | instid1(VALU_DEP_2)
	v_cmp_ne_u32_e32 vcc_lo, 0, v9
	v_cmp_ne_u32_e64 s2, 0, v11
	s_delay_alu instid0(VALU_DEP_4) | instskip(NEXT) | instid1(VALU_DEP_1)
	v_dual_cndmask_b32 v9, v17, v15, vcc_lo :: v_dual_cndmask_b32 v11, v16, v14, vcc_lo
	v_dual_cndmask_b32 v12, v12, v11, s2 :: v_dual_mov_b32 v11, v10
	s_delay_alu instid0(VALU_DEP_1) | instskip(NEXT) | instid1(VALU_DEP_1)
	v_dual_cndmask_b32 v9, v13, v9, s2 :: v_dual_bitop2_b32 v12, v12, v10 bitop3:0x14
	v_xor_b32_e32 v13, v9, v10
	s_delay_alu instid0(VALU_DEP_1)
	v_sub_nc_u64_e32 v[10:11], v[12:13], v[10:11]
.LBB4_11:
	s_and_not1_saveexec_b32 s2, s3
	s_cbranch_execz .LBB4_13
; %bb.12:
	v_cvt_f32_u32_e32 v9, s10
	s_sub_co_i32 s3, 0, s10
	s_delay_alu instid0(VALU_DEP_1) | instskip(SKIP_1) | instid1(TRANS32_DEP_1)
	v_rcp_iflag_f32_e32 v9, v9
	v_nop
	v_mul_f32_e32 v9, 0x4f7ffffe, v9
	s_delay_alu instid0(VALU_DEP_1) | instskip(NEXT) | instid1(VALU_DEP_1)
	v_cvt_u32_f32_e32 v9, v9
	v_mul_lo_u32 v10, s3, v9
	s_delay_alu instid0(VALU_DEP_1) | instskip(NEXT) | instid1(VALU_DEP_1)
	v_mul_hi_u32 v10, v9, v10
	v_add_nc_u32_e32 v9, v9, v10
	s_delay_alu instid0(VALU_DEP_1) | instskip(NEXT) | instid1(VALU_DEP_1)
	v_mul_hi_u32 v9, v6, v9
	v_mul_lo_u32 v10, v9, s10
	s_delay_alu instid0(VALU_DEP_1) | instskip(NEXT) | instid1(VALU_DEP_1)
	v_dual_add_nc_u32 v11, 1, v9 :: v_dual_sub_nc_u32 v10, v6, v10
	v_subrev_nc_u32_e32 v12, s10, v10
	v_cmp_le_u32_e32 vcc_lo, s10, v10
	s_delay_alu instid0(VALU_DEP_2) | instskip(NEXT) | instid1(VALU_DEP_1)
	v_dual_cndmask_b32 v10, v10, v12 :: v_dual_cndmask_b32 v9, v9, v11
	v_cmp_le_u32_e32 vcc_lo, s10, v10
	s_delay_alu instid0(VALU_DEP_2) | instskip(NEXT) | instid1(VALU_DEP_1)
	v_add_nc_u32_e32 v11, 1, v9
	v_dual_cndmask_b32 v10, v9, v11 :: v_dual_mov_b32 v11, 0
.LBB4_13:
	s_or_b32 exec_lo, exec_lo, s2
	s_load_b512 s[36:51], s[0:1], 0x40
                                        ; implicit-def: $vgpr32_vgpr33
	s_mov_b32 s2, exec_lo
	v_mov_b32_e32 v12, 0
	s_wait_kmcnt 0x0
	s_mul_u64 s[8:9], s[42:43], s[40:41]
	s_delay_alu instid0(SALU_CYCLE_1) | instskip(NEXT) | instid1(SALU_CYCLE_1)
	s_mul_u64 s[12:13], s[8:9], s[44:45]
	v_or_b32_e32 v13, s13, v5
	s_delay_alu instid0(VALU_DEP_1)
	v_cmpx_ne_u64_e32 0, v[12:13]
	s_xor_b32 s3, exec_lo, s2
	s_cbranch_execz .LBB4_15
; %bb.14:
	s_ashr_i32 s14, s13, 31
	s_mov_b32 s29, 0
	s_mov_b32 s15, s14
	v_dual_mov_b32 v9, v8 :: v_dual_mov_b32 v17, v12
	s_add_nc_u64 s[20:21], s[12:13], s[14:15]
	v_mov_b32_e32 v19, v12
	s_xor_b64 s[20:21], s[20:21], s[14:15]
	s_delay_alu instid0(VALU_DEP_2) | instskip(SKIP_4) | instid1(SALU_CYCLE_1)
	v_add_nc_u64_e32 v[14:15], v[4:5], v[8:9]
	s_cvt_f32_u32 s2, s20
	s_cvt_f32_u32 s15, s21
	s_sub_nc_u64 s[24:25], 0, s[20:21]
	v_mov_b32_e32 v25, v12
	s_fmamk_f32 s2, s15, 0x4f800000, s2
	s_delay_alu instid0(VALU_DEP_2) | instskip(SKIP_1) | instid1(SALU_CYCLE_1)
	v_xor_b32_e32 v16, v14, v8
	v_dual_mov_b32 v13, v12 :: v_dual_bitop2_b32 v18, v15, v8 bitop3:0x14
	v_s_rcp_f32 s2, s2
	v_xor_b32_e32 v8, s14, v8
	s_delay_alu instid0(TRANS32_DEP_1) | instskip(NEXT) | instid1(SALU_CYCLE_3)
	s_mul_f32 s2, s2, 0x5f7ffffc
	s_mul_f32 s15, s2, 0x2f800000
	s_delay_alu instid0(SALU_CYCLE_3) | instskip(NEXT) | instid1(SALU_CYCLE_3)
	s_trunc_f32 s15, s15
	s_fmamk_f32 s2, s15, 0xcf800000, s2
	s_cvt_u32_f32 s23, s15
	s_delay_alu instid0(SALU_CYCLE_2) | instskip(NEXT) | instid1(SALU_CYCLE_3)
	s_cvt_u32_f32 s22, s2
	s_mul_u64 s[26:27], s[24:25], s[22:23]
	s_delay_alu instid0(SALU_CYCLE_1)
	s_mul_hi_u32 s31, s22, s27
	s_mul_i32 s30, s22, s27
	s_mul_hi_u32 s28, s22, s26
	s_mul_i32 s15, s23, s26
	s_add_nc_u64 s[30:31], s[28:29], s[30:31]
	s_mul_hi_u32 s2, s23, s26
	s_mul_hi_u32 s33, s23, s27
	s_add_co_u32 s15, s30, s15
	s_add_co_ci_u32 s28, s31, s2
	s_mul_i32 s26, s23, s27
	s_add_co_ci_u32 s27, s33, 0
	s_delay_alu instid0(SALU_CYCLE_1) | instskip(NEXT) | instid1(SALU_CYCLE_1)
	s_add_nc_u64 s[26:27], s[28:29], s[26:27]
	s_add_co_u32 s22, s22, s26
	s_cselect_b32 s2, -1, 0
	s_delay_alu instid0(SALU_CYCLE_1) | instskip(SKIP_1) | instid1(SALU_CYCLE_1)
	s_cmp_lg_u32 s2, 0
	s_add_co_ci_u32 s23, s23, s27
	s_mul_u64 s[24:25], s[24:25], s[22:23]
	s_delay_alu instid0(SALU_CYCLE_1)
	s_mul_hi_u32 s27, s22, s25
	s_mul_i32 s26, s22, s25
	s_mul_hi_u32 s28, s22, s24
	s_mul_i32 s15, s23, s24
	s_add_nc_u64 s[26:27], s[28:29], s[26:27]
	s_mul_hi_u32 s2, s23, s24
	s_mul_hi_u32 s30, s23, s25
	s_add_co_u32 s15, s26, s15
	s_add_co_ci_u32 s28, s27, s2
	s_mul_i32 s24, s23, s25
	s_add_co_ci_u32 s25, s30, 0
	s_delay_alu instid0(SALU_CYCLE_1) | instskip(NEXT) | instid1(SALU_CYCLE_1)
	s_add_nc_u64 s[24:25], s[28:29], s[24:25]
	s_add_co_u32 s2, s22, s24
	s_cselect_b32 s15, -1, 0
	v_mul_hi_u32 v24, v16, s2
	s_cmp_lg_u32 s15, 0
	s_add_co_ci_u32 s28, s23, s25
	s_mov_b64 s[22:23], 0xffffffff
	v_mul_u64_e32 v[20:21], s[28:29], v[16:17]
	s_and_b64 s[22:23], s[2:3], s[22:23]
	v_mul_u64_e32 v[22:23], s[28:29], v[18:19]
	v_mul_u64_e32 v[14:15], s[22:23], v[18:19]
	s_delay_alu instid0(VALU_DEP_3) | instskip(NEXT) | instid1(VALU_DEP_1)
	v_add_nc_u64_e32 v[20:21], v[24:25], v[20:21]
	v_add_co_u32 v9, vcc_lo, v20, v14
	s_delay_alu instid0(VALU_DEP_2) | instskip(SKIP_1) | instid1(VALU_DEP_1)
	v_add_co_ci_u32_e32 v12, vcc_lo, v21, v15, vcc_lo
	v_add_co_ci_u32_e32 v23, vcc_lo, 0, v23, vcc_lo
	v_add_nc_u64_e32 v[12:13], v[12:13], v[22:23]
	s_delay_alu instid0(VALU_DEP_1) | instskip(NEXT) | instid1(VALU_DEP_1)
	v_mul_u64_e32 v[14:15], s[20:21], v[12:13]
	v_sub_nc_u32_e32 v9, v18, v15
	s_delay_alu instid0(VALU_DEP_2) | instskip(NEXT) | instid1(VALU_DEP_1)
	v_sub_co_u32 v14, vcc_lo, v16, v14
	v_sub_co_ci_u32_e64 v18, null, v18, v15, vcc_lo
	s_delay_alu instid0(VALU_DEP_3) | instskip(NEXT) | instid1(VALU_DEP_3)
	v_subrev_co_ci_u32_e64 v9, null, s21, v9, vcc_lo
	v_sub_co_u32 v16, s2, v14, s20
	s_delay_alu instid0(VALU_DEP_1) | instskip(NEXT) | instid1(VALU_DEP_2)
	v_subrev_co_ci_u32_e64 v9, null, 0, v9, s2
	v_cmp_le_u32_e32 vcc_lo, s20, v16
	v_cndmask_b32_e64 v15, 0, -1, vcc_lo
	s_delay_alu instid0(VALU_DEP_3)
	v_cmp_le_u32_e32 vcc_lo, s21, v9
	v_cndmask_b32_e64 v16, 0, -1, vcc_lo
	v_cmp_le_u32_e32 vcc_lo, s20, v14
	v_cndmask_b32_e64 v19, 0, -1, vcc_lo
	;; [unrolled: 2-line block ×3, first 2 shown]
	v_cmp_eq_u32_e32 vcc_lo, s21, v9
	v_cndmask_b32_e32 v9, v16, v15, vcc_lo
	v_cmp_eq_u32_e32 vcc_lo, s21, v18
	v_add_nc_u64_e32 v[14:15], 2, v[12:13]
	v_add_nc_u64_e32 v[16:17], 1, v[12:13]
	v_cndmask_b32_e32 v18, v20, v19, vcc_lo
	v_cmp_ne_u32_e32 vcc_lo, 0, v9
	s_delay_alu instid0(VALU_DEP_2) | instskip(NEXT) | instid1(VALU_DEP_4)
	v_cmp_ne_u32_e64 s2, 0, v18
	v_dual_cndmask_b32 v14, v16, v14 :: v_dual_cndmask_b32 v9, v17, v15
	s_delay_alu instid0(VALU_DEP_1) | instskip(SKIP_1) | instid1(VALU_DEP_2)
	v_dual_cndmask_b32 v12, v12, v14, s2 :: v_dual_cndmask_b32 v13, v13, v9, s2
	v_mov_b32_e32 v9, v8
	v_xor_b32_e32 v12, v12, v8
	s_delay_alu instid0(VALU_DEP_3) | instskip(NEXT) | instid1(VALU_DEP_1)
	v_xor_b32_e32 v13, v13, v8
	v_sub_nc_u64_e32 v[32:33], v[12:13], v[8:9]
.LBB4_15:
	s_and_not1_saveexec_b32 s2, s3
	s_cbranch_execz .LBB4_17
; %bb.16:
	v_cvt_f32_u32_e32 v8, s12
	s_sub_co_i32 s3, 0, s12
	v_mov_b32_e32 v33, 0
	s_delay_alu instid0(VALU_DEP_2) | instskip(SKIP_1) | instid1(TRANS32_DEP_1)
	v_rcp_iflag_f32_e32 v8, v8
	v_nop
	v_mul_f32_e32 v8, 0x4f7ffffe, v8
	s_delay_alu instid0(VALU_DEP_1) | instskip(NEXT) | instid1(VALU_DEP_1)
	v_cvt_u32_f32_e32 v8, v8
	v_mul_lo_u32 v9, s3, v8
	s_delay_alu instid0(VALU_DEP_1) | instskip(NEXT) | instid1(VALU_DEP_1)
	v_mul_hi_u32 v9, v8, v9
	v_add_nc_u32_e32 v8, v8, v9
	s_delay_alu instid0(VALU_DEP_1) | instskip(NEXT) | instid1(VALU_DEP_1)
	v_mul_hi_u32 v8, v4, v8
	v_mul_lo_u32 v9, v8, s12
	s_delay_alu instid0(VALU_DEP_1) | instskip(NEXT) | instid1(VALU_DEP_1)
	v_sub_nc_u32_e32 v9, v4, v9
	v_subrev_nc_u32_e32 v13, s12, v9
	v_cmp_le_u32_e32 vcc_lo, s12, v9
	s_delay_alu instid0(VALU_DEP_2) | instskip(NEXT) | instid1(VALU_DEP_1)
	v_dual_cndmask_b32 v9, v9, v13 :: v_dual_add_nc_u32 v12, 1, v8
	v_cndmask_b32_e32 v8, v8, v12, vcc_lo
	s_delay_alu instid0(VALU_DEP_2) | instskip(NEXT) | instid1(VALU_DEP_2)
	v_cmp_le_u32_e32 vcc_lo, s12, v9
	v_add_nc_u32_e32 v12, 1, v8
	s_delay_alu instid0(VALU_DEP_1)
	v_cndmask_b32_e32 v32, v8, v12, vcc_lo
.LBB4_17:
	s_or_b32 exec_lo, exec_lo, s2
	s_delay_alu instid0(VALU_DEP_1) | instskip(SKIP_1) | instid1(VALU_DEP_1)
	v_mul_u64_e32 v[8:9], s[12:13], v[32:33]
                                        ; implicit-def: $vgpr34_vgpr35
	s_mov_b32 s2, exec_lo
	v_sub_nc_u64_e32 v[4:5], v[4:5], v[8:9]
	s_delay_alu instid0(VALU_DEP_1) | instskip(NEXT) | instid1(VALU_DEP_1)
	v_dual_mov_b32 v8, 0 :: v_dual_bitop2_b32 v9, s9, v5 bitop3:0x54
	v_cmpx_ne_u64_e32 0, v[8:9]
	s_xor_b32 s3, exec_lo, s2
	s_cbranch_execz .LBB4_19
; %bb.18:
	s_ashr_i32 s12, s9, 31
	s_mov_b32 s27, 0
	s_mov_b32 s13, s12
	v_dual_mov_b32 v17, v8 :: v_dual_ashrrev_i32 v12, 31, v5
	s_add_nc_u64 s[14:15], s[8:9], s[12:13]
	v_dual_mov_b32 v25, v8 :: v_dual_mov_b32 v9, v8
	s_xor_b64 s[14:15], s[14:15], s[12:13]
	s_delay_alu instid0(VALU_DEP_2) | instskip(SKIP_3) | instid1(VALU_DEP_1)
	v_mov_b32_e32 v13, v12
	s_cvt_f32_u32 s2, s14
	s_cvt_f32_u32 s13, s15
	s_sub_nc_u64 s[22:23], 0, s[14:15]
	v_add_nc_u64_e32 v[14:15], v[4:5], v[12:13]
	s_delay_alu instid0(SALU_CYCLE_1) | instskip(SKIP_1) | instid1(SALU_CYCLE_2)
	s_fmamk_f32 s2, s13, 0x4f800000, s2
	v_mov_b32_e32 v19, v8
	v_s_rcp_f32 s2, s2
	s_delay_alu instid0(VALU_DEP_2) | instskip(NEXT) | instid1(VALU_DEP_3)
	v_xor_b32_e32 v16, v14, v12
	v_xor_b32_e32 v18, v15, v12
	;; [unrolled: 1-line block ×3, first 2 shown]
	s_delay_alu instid0(TRANS32_DEP_1) | instskip(NEXT) | instid1(SALU_CYCLE_3)
	s_mul_f32 s2, s2, 0x5f7ffffc
	s_mul_f32 s13, s2, 0x2f800000
	s_delay_alu instid0(SALU_CYCLE_3) | instskip(NEXT) | instid1(SALU_CYCLE_3)
	s_trunc_f32 s13, s13
	s_fmamk_f32 s2, s13, 0xcf800000, s2
	s_cvt_u32_f32 s21, s13
	s_delay_alu instid0(SALU_CYCLE_2) | instskip(NEXT) | instid1(SALU_CYCLE_3)
	s_cvt_u32_f32 s20, s2
	s_mul_u64 s[24:25], s[22:23], s[20:21]
	s_delay_alu instid0(SALU_CYCLE_1)
	s_mul_hi_u32 s29, s20, s25
	s_mul_i32 s28, s20, s25
	s_mul_hi_u32 s26, s20, s24
	s_mul_i32 s13, s21, s24
	s_add_nc_u64 s[28:29], s[26:27], s[28:29]
	s_mul_hi_u32 s2, s21, s24
	s_mul_hi_u32 s30, s21, s25
	s_add_co_u32 s13, s28, s13
	s_add_co_ci_u32 s26, s29, s2
	s_mul_i32 s24, s21, s25
	s_add_co_ci_u32 s25, s30, 0
	s_delay_alu instid0(SALU_CYCLE_1) | instskip(NEXT) | instid1(SALU_CYCLE_1)
	s_add_nc_u64 s[24:25], s[26:27], s[24:25]
	s_add_co_u32 s20, s20, s24
	s_cselect_b32 s2, -1, 0
	s_delay_alu instid0(SALU_CYCLE_1) | instskip(SKIP_1) | instid1(SALU_CYCLE_1)
	s_cmp_lg_u32 s2, 0
	s_add_co_ci_u32 s21, s21, s25
	s_mul_u64 s[22:23], s[22:23], s[20:21]
	s_delay_alu instid0(SALU_CYCLE_1)
	s_mul_hi_u32 s25, s20, s23
	s_mul_i32 s24, s20, s23
	s_mul_hi_u32 s26, s20, s22
	s_mul_i32 s13, s21, s22
	s_add_nc_u64 s[24:25], s[26:27], s[24:25]
	s_mul_hi_u32 s2, s21, s22
	s_mul_hi_u32 s28, s21, s23
	s_add_co_u32 s13, s24, s13
	s_add_co_ci_u32 s26, s25, s2
	s_mul_i32 s22, s21, s23
	s_add_co_ci_u32 s23, s28, 0
	s_delay_alu instid0(SALU_CYCLE_1) | instskip(NEXT) | instid1(SALU_CYCLE_1)
	s_add_nc_u64 s[22:23], s[26:27], s[22:23]
	s_add_co_u32 s2, s20, s22
	s_cselect_b32 s13, -1, 0
	v_mul_hi_u32 v24, v16, s2
	s_cmp_lg_u32 s13, 0
	s_add_co_ci_u32 s26, s21, s23
	s_mov_b64 s[20:21], 0xffffffff
	v_mul_u64_e32 v[20:21], s[26:27], v[16:17]
	s_and_b64 s[20:21], s[2:3], s[20:21]
	v_mul_u64_e32 v[22:23], s[26:27], v[18:19]
	v_mul_u64_e32 v[14:15], s[20:21], v[18:19]
	s_delay_alu instid0(VALU_DEP_3) | instskip(NEXT) | instid1(VALU_DEP_1)
	v_add_nc_u64_e32 v[20:21], v[24:25], v[20:21]
	v_add_co_u32 v8, vcc_lo, v20, v14
	s_delay_alu instid0(VALU_DEP_2) | instskip(SKIP_1) | instid1(VALU_DEP_1)
	v_add_co_ci_u32_e32 v8, vcc_lo, v21, v15, vcc_lo
	v_add_co_ci_u32_e32 v23, vcc_lo, 0, v23, vcc_lo
	v_add_nc_u64_e32 v[8:9], v[8:9], v[22:23]
	s_delay_alu instid0(VALU_DEP_1) | instskip(NEXT) | instid1(VALU_DEP_1)
	v_mul_u64_e32 v[14:15], s[14:15], v[8:9]
	v_sub_nc_u32_e32 v13, v18, v15
	s_delay_alu instid0(VALU_DEP_2) | instskip(NEXT) | instid1(VALU_DEP_1)
	v_sub_co_u32 v14, vcc_lo, v16, v14
	v_sub_co_ci_u32_e64 v18, null, v18, v15, vcc_lo
	s_delay_alu instid0(VALU_DEP_3) | instskip(NEXT) | instid1(VALU_DEP_3)
	v_subrev_co_ci_u32_e64 v13, null, s15, v13, vcc_lo
	v_sub_co_u32 v16, s2, v14, s14
	s_delay_alu instid0(VALU_DEP_1) | instskip(NEXT) | instid1(VALU_DEP_2)
	v_subrev_co_ci_u32_e64 v13, null, 0, v13, s2
	v_cmp_le_u32_e32 vcc_lo, s14, v16
	v_cndmask_b32_e64 v15, 0, -1, vcc_lo
	s_delay_alu instid0(VALU_DEP_3)
	v_cmp_le_u32_e32 vcc_lo, s15, v13
	v_cndmask_b32_e64 v16, 0, -1, vcc_lo
	v_cmp_le_u32_e32 vcc_lo, s14, v14
	v_cndmask_b32_e64 v19, 0, -1, vcc_lo
	v_cmp_le_u32_e32 vcc_lo, s15, v18
	v_cndmask_b32_e64 v20, 0, -1, vcc_lo
	v_cmp_eq_u32_e32 vcc_lo, s15, v13
	v_cndmask_b32_e32 v13, v16, v15, vcc_lo
	v_cmp_eq_u32_e32 vcc_lo, s15, v18
	v_add_nc_u64_e32 v[14:15], 2, v[8:9]
	v_add_nc_u64_e32 v[16:17], 1, v[8:9]
	v_cndmask_b32_e32 v18, v20, v19, vcc_lo
	v_cmp_ne_u32_e32 vcc_lo, 0, v13
	s_delay_alu instid0(VALU_DEP_2) | instskip(NEXT) | instid1(VALU_DEP_4)
	v_cmp_ne_u32_e64 s2, 0, v18
	v_dual_cndmask_b32 v14, v16, v14 :: v_dual_cndmask_b32 v13, v17, v15
	s_delay_alu instid0(VALU_DEP_1) | instskip(SKIP_1) | instid1(VALU_DEP_2)
	v_dual_cndmask_b32 v8, v8, v14, s2 :: v_dual_cndmask_b32 v9, v9, v13, s2
	v_mov_b32_e32 v13, v12
	v_xor_b32_e32 v8, v8, v12
	s_delay_alu instid0(VALU_DEP_3) | instskip(NEXT) | instid1(VALU_DEP_1)
	v_xor_b32_e32 v9, v9, v12
	v_sub_nc_u64_e32 v[34:35], v[8:9], v[12:13]
.LBB4_19:
	s_and_not1_saveexec_b32 s2, s3
	s_cbranch_execz .LBB4_21
; %bb.20:
	v_cvt_f32_u32_e32 v8, s8
	s_sub_co_i32 s3, 0, s8
	v_mov_b32_e32 v35, 0
	s_delay_alu instid0(VALU_DEP_2) | instskip(SKIP_1) | instid1(TRANS32_DEP_1)
	v_rcp_iflag_f32_e32 v8, v8
	v_nop
	v_mul_f32_e32 v8, 0x4f7ffffe, v8
	s_delay_alu instid0(VALU_DEP_1) | instskip(NEXT) | instid1(VALU_DEP_1)
	v_cvt_u32_f32_e32 v8, v8
	v_mul_lo_u32 v9, s3, v8
	s_delay_alu instid0(VALU_DEP_1) | instskip(NEXT) | instid1(VALU_DEP_1)
	v_mul_hi_u32 v9, v8, v9
	v_add_nc_u32_e32 v8, v8, v9
	s_delay_alu instid0(VALU_DEP_1) | instskip(NEXT) | instid1(VALU_DEP_1)
	v_mul_hi_u32 v8, v4, v8
	v_mul_lo_u32 v9, v8, s8
	s_delay_alu instid0(VALU_DEP_1) | instskip(NEXT) | instid1(VALU_DEP_1)
	v_sub_nc_u32_e32 v9, v4, v9
	v_subrev_nc_u32_e32 v13, s8, v9
	v_cmp_le_u32_e32 vcc_lo, s8, v9
	s_delay_alu instid0(VALU_DEP_2) | instskip(NEXT) | instid1(VALU_DEP_1)
	v_dual_cndmask_b32 v9, v9, v13 :: v_dual_add_nc_u32 v12, 1, v8
	v_cndmask_b32_e32 v8, v8, v12, vcc_lo
	s_delay_alu instid0(VALU_DEP_2) | instskip(NEXT) | instid1(VALU_DEP_2)
	v_cmp_le_u32_e32 vcc_lo, s8, v9
	v_add_nc_u32_e32 v12, 1, v8
	s_delay_alu instid0(VALU_DEP_1)
	v_cndmask_b32_e32 v34, v8, v12, vcc_lo
.LBB4_21:
	s_or_b32 exec_lo, exec_lo, s2
	s_delay_alu instid0(VALU_DEP_1) | instskip(SKIP_1) | instid1(VALU_DEP_1)
	v_mul_u64_e32 v[8:9], s[8:9], v[34:35]
                                        ; implicit-def: $vgpr38_vgpr39
	s_mov_b32 s2, exec_lo
	v_sub_nc_u64_e32 v[36:37], v[4:5], v[8:9]
	s_delay_alu instid0(VALU_DEP_1) | instskip(NEXT) | instid1(VALU_DEP_1)
	v_dual_mov_b32 v4, 0 :: v_dual_bitop2_b32 v5, s41, v37 bitop3:0x54
	v_cmpx_ne_u64_e32 0, v[4:5]
	s_xor_b32 s3, exec_lo, s2
	s_cbranch_execz .LBB4_23
; %bb.22:
	s_ashr_i32 s8, s41, 31
	s_mov_b32 s25, 0
	s_mov_b32 s9, s8
	v_dual_mov_b32 v15, v4 :: v_dual_ashrrev_i32 v8, 31, v37
	s_add_nc_u64 s[12:13], s[40:41], s[8:9]
	v_mov_b32_e32 v17, v4
	s_xor_b64 s[12:13], s[12:13], s[8:9]
	s_delay_alu instid0(VALU_DEP_2)
	v_mov_b32_e32 v9, v8
	s_cvt_f32_u32 s2, s12
	s_cvt_f32_u32 s9, s13
	s_sub_nc_u64 s[20:21], 0, s[12:13]
	v_mov_b32_e32 v5, v4
	v_add_nc_u64_e32 v[12:13], v[36:37], v[8:9]
	s_fmamk_f32 s2, s9, 0x4f800000, s2
	v_mov_b32_e32 v23, v4
	s_delay_alu instid0(SALU_CYCLE_2) | instskip(NEXT) | instid1(VALU_DEP_2)
	v_s_rcp_f32 s2, s2
	v_xor_b32_e32 v14, v12, v8
	s_delay_alu instid0(VALU_DEP_3) | instskip(SKIP_1) | instid1(TRANS32_DEP_1)
	v_xor_b32_e32 v16, v13, v8
	v_xor_b32_e32 v8, s8, v8
	s_mul_f32 s2, s2, 0x5f7ffffc
	s_delay_alu instid0(SALU_CYCLE_3) | instskip(NEXT) | instid1(SALU_CYCLE_3)
	s_mul_f32 s9, s2, 0x2f800000
	s_trunc_f32 s9, s9
	s_delay_alu instid0(SALU_CYCLE_3) | instskip(SKIP_1) | instid1(SALU_CYCLE_2)
	s_fmamk_f32 s2, s9, 0xcf800000, s2
	s_cvt_u32_f32 s15, s9
	s_cvt_u32_f32 s14, s2
	s_delay_alu instid0(SALU_CYCLE_3) | instskip(NEXT) | instid1(SALU_CYCLE_1)
	s_mul_u64 s[22:23], s[20:21], s[14:15]
	s_mul_hi_u32 s27, s14, s23
	s_mul_i32 s26, s14, s23
	s_mul_hi_u32 s24, s14, s22
	s_mul_i32 s9, s15, s22
	s_add_nc_u64 s[26:27], s[24:25], s[26:27]
	s_mul_hi_u32 s2, s15, s22
	s_mul_hi_u32 s28, s15, s23
	s_add_co_u32 s9, s26, s9
	s_add_co_ci_u32 s24, s27, s2
	s_mul_i32 s22, s15, s23
	s_add_co_ci_u32 s23, s28, 0
	s_delay_alu instid0(SALU_CYCLE_1) | instskip(NEXT) | instid1(SALU_CYCLE_1)
	s_add_nc_u64 s[22:23], s[24:25], s[22:23]
	s_add_co_u32 s14, s14, s22
	s_cselect_b32 s2, -1, 0
	s_delay_alu instid0(SALU_CYCLE_1) | instskip(SKIP_1) | instid1(SALU_CYCLE_1)
	s_cmp_lg_u32 s2, 0
	s_add_co_ci_u32 s15, s15, s23
	s_mul_u64 s[20:21], s[20:21], s[14:15]
	s_delay_alu instid0(SALU_CYCLE_1)
	s_mul_hi_u32 s23, s14, s21
	s_mul_i32 s22, s14, s21
	s_mul_hi_u32 s24, s14, s20
	s_mul_i32 s9, s15, s20
	s_add_nc_u64 s[22:23], s[24:25], s[22:23]
	s_mul_hi_u32 s2, s15, s20
	s_mul_hi_u32 s26, s15, s21
	s_add_co_u32 s9, s22, s9
	s_add_co_ci_u32 s24, s23, s2
	s_mul_i32 s20, s15, s21
	s_add_co_ci_u32 s21, s26, 0
	s_delay_alu instid0(SALU_CYCLE_1) | instskip(NEXT) | instid1(SALU_CYCLE_1)
	s_add_nc_u64 s[20:21], s[24:25], s[20:21]
	s_add_co_u32 s2, s14, s20
	s_cselect_b32 s9, -1, 0
	v_mul_hi_u32 v22, v14, s2
	s_cmp_lg_u32 s9, 0
	s_add_co_ci_u32 s24, s15, s21
	s_mov_b64 s[14:15], 0xffffffff
	v_mul_u64_e32 v[18:19], s[24:25], v[14:15]
	s_and_b64 s[14:15], s[2:3], s[14:15]
	v_mul_u64_e32 v[20:21], s[24:25], v[16:17]
	v_mul_u64_e32 v[12:13], s[14:15], v[16:17]
	s_delay_alu instid0(VALU_DEP_3) | instskip(NEXT) | instid1(VALU_DEP_1)
	v_add_nc_u64_e32 v[18:19], v[22:23], v[18:19]
	v_add_co_u32 v4, vcc_lo, v18, v12
	s_delay_alu instid0(VALU_DEP_2) | instskip(SKIP_1) | instid1(VALU_DEP_1)
	v_add_co_ci_u32_e32 v4, vcc_lo, v19, v13, vcc_lo
	v_add_co_ci_u32_e32 v21, vcc_lo, 0, v21, vcc_lo
	v_add_nc_u64_e32 v[4:5], v[4:5], v[20:21]
	s_delay_alu instid0(VALU_DEP_1) | instskip(NEXT) | instid1(VALU_DEP_1)
	v_mul_u64_e32 v[12:13], s[12:13], v[4:5]
	v_sub_nc_u32_e32 v9, v16, v13
	s_delay_alu instid0(VALU_DEP_2) | instskip(NEXT) | instid1(VALU_DEP_1)
	v_sub_co_u32 v12, vcc_lo, v14, v12
	v_sub_co_ci_u32_e64 v16, null, v16, v13, vcc_lo
	s_delay_alu instid0(VALU_DEP_3) | instskip(NEXT) | instid1(VALU_DEP_3)
	v_subrev_co_ci_u32_e64 v9, null, s13, v9, vcc_lo
	v_sub_co_u32 v14, s2, v12, s12
	s_delay_alu instid0(VALU_DEP_1) | instskip(NEXT) | instid1(VALU_DEP_2)
	v_subrev_co_ci_u32_e64 v9, null, 0, v9, s2
	v_cmp_le_u32_e32 vcc_lo, s12, v14
	v_cndmask_b32_e64 v13, 0, -1, vcc_lo
	s_delay_alu instid0(VALU_DEP_3)
	v_cmp_le_u32_e32 vcc_lo, s13, v9
	v_cndmask_b32_e64 v14, 0, -1, vcc_lo
	v_cmp_le_u32_e32 vcc_lo, s12, v12
	v_cndmask_b32_e64 v17, 0, -1, vcc_lo
	;; [unrolled: 2-line block ×3, first 2 shown]
	v_cmp_eq_u32_e32 vcc_lo, s13, v9
	v_cndmask_b32_e32 v9, v14, v13, vcc_lo
	v_cmp_eq_u32_e32 vcc_lo, s13, v16
	v_add_nc_u64_e32 v[12:13], 2, v[4:5]
	v_add_nc_u64_e32 v[14:15], 1, v[4:5]
	v_cndmask_b32_e32 v16, v18, v17, vcc_lo
	v_cmp_ne_u32_e32 vcc_lo, 0, v9
	s_delay_alu instid0(VALU_DEP_2) | instskip(NEXT) | instid1(VALU_DEP_4)
	v_cmp_ne_u32_e64 s2, 0, v16
	v_dual_cndmask_b32 v9, v15, v13 :: v_dual_cndmask_b32 v12, v14, v12
	s_delay_alu instid0(VALU_DEP_1) | instskip(NEXT) | instid1(VALU_DEP_1)
	v_dual_cndmask_b32 v5, v5, v9, s2 :: v_dual_cndmask_b32 v4, v4, v12, s2
	v_dual_mov_b32 v9, v8 :: v_dual_bitop2_b32 v5, v5, v8 bitop3:0x14
	s_delay_alu instid0(VALU_DEP_2) | instskip(NEXT) | instid1(VALU_DEP_1)
	v_xor_b32_e32 v4, v4, v8
	v_sub_nc_u64_e32 v[38:39], v[4:5], v[8:9]
.LBB4_23:
	s_and_not1_saveexec_b32 s2, s3
	s_cbranch_execz .LBB4_25
; %bb.24:
	v_cvt_f32_u32_e32 v4, s40
	s_sub_co_i32 s3, 0, s40
	v_mov_b32_e32 v39, 0
	s_delay_alu instid0(VALU_DEP_2) | instskip(SKIP_1) | instid1(TRANS32_DEP_1)
	v_rcp_iflag_f32_e32 v4, v4
	v_nop
	v_mul_f32_e32 v4, 0x4f7ffffe, v4
	s_delay_alu instid0(VALU_DEP_1) | instskip(NEXT) | instid1(VALU_DEP_1)
	v_cvt_u32_f32_e32 v4, v4
	v_mul_lo_u32 v5, s3, v4
	s_delay_alu instid0(VALU_DEP_1) | instskip(NEXT) | instid1(VALU_DEP_1)
	v_mul_hi_u32 v5, v4, v5
	v_add_nc_u32_e32 v4, v4, v5
	s_delay_alu instid0(VALU_DEP_1) | instskip(NEXT) | instid1(VALU_DEP_1)
	v_mul_hi_u32 v4, v36, v4
	v_mul_lo_u32 v5, v4, s40
	s_delay_alu instid0(VALU_DEP_1) | instskip(NEXT) | instid1(VALU_DEP_1)
	v_sub_nc_u32_e32 v5, v36, v5
	v_subrev_nc_u32_e32 v9, s40, v5
	v_cmp_le_u32_e32 vcc_lo, s40, v5
	s_delay_alu instid0(VALU_DEP_2) | instskip(NEXT) | instid1(VALU_DEP_1)
	v_dual_cndmask_b32 v5, v5, v9 :: v_dual_add_nc_u32 v8, 1, v4
	v_cndmask_b32_e32 v4, v4, v8, vcc_lo
	s_delay_alu instid0(VALU_DEP_2) | instskip(NEXT) | instid1(VALU_DEP_2)
	v_cmp_le_u32_e32 vcc_lo, s40, v5
	v_add_nc_u32_e32 v8, 1, v4
	s_delay_alu instid0(VALU_DEP_1)
	v_cndmask_b32_e32 v38, v4, v8, vcc_lo
.LBB4_25:
	s_or_b32 exec_lo, exec_lo, s2
	v_mul_u64_e32 v[4:5], s[10:11], v[10:11]
	s_load_b64 s[0:1], s[0:1], 0x80
	s_delay_alu instid0(VALU_DEP_1) | instskip(NEXT) | instid1(VALU_DEP_1)
	v_sub_nc_u64_e32 v[4:5], v[6:7], v[4:5]
	v_mad_nc_u64_u32 v[6:7], v4, s16, s[4:5]
	s_delay_alu instid0(VALU_DEP_1) | instskip(NEXT) | instid1(VALU_DEP_1)
	v_mad_u32 v5, v5, s16, v7
	v_mad_u32 v7, v4, s17, v5
	s_delay_alu instid0(VALU_DEP_1) | instskip(NEXT) | instid1(VALU_DEP_1)
	v_mad_nc_u64_u32 v[4:5], v10, s18, v[6:7]
	v_mad_u32 v5, v11, s18, v5
	s_delay_alu instid0(VALU_DEP_1) | instskip(NEXT) | instid1(VALU_DEP_1)
	v_mad_u32 v5, v10, s19, v5
	v_mad_nc_u64_u32 v[4:5], v2, s36, v[4:5]
	s_delay_alu instid0(VALU_DEP_1) | instskip(NEXT) | instid1(VALU_DEP_1)
	v_mad_u32 v3, v3, s36, v5
	v_mad_u32 v5, v2, s37, v3
	s_delay_alu instid0(VALU_DEP_1) | instskip(NEXT) | instid1(VALU_DEP_1)
	v_mad_nc_u64_u32 v[40:41], v0, s38, v[4:5]
	v_mad_u32 v1, v1, s38, v41
	s_delay_alu instid0(VALU_DEP_1)
	v_mad_u32 v41, v0, s39, v1
	s_clause 0x7
	global_load_b128 v[20:23], v[40:41], off
	global_load_b128 v[12:15], v[40:41], off offset:16
	global_load_b128 v[4:7], v[40:41], off offset:32
	;; [unrolled: 1-line block ×7, first 2 shown]
	s_wait_loadcnt 0x7
	v_cmp_gt_f32_e32 vcc_lo, 0x7f7fffff, v20
	s_wait_xcnt 0x0
	v_cndmask_b32_e32 v40, 0x7f7fffff, v20, vcc_lo
	v_cmp_lt_f32_e32 vcc_lo, 0xff7fffff, v20
	v_cndmask_b32_e32 v41, 0xff7fffff, v20, vcc_lo
	s_delay_alu instid0(VALU_DEP_3) | instskip(SKIP_1) | instid1(VALU_DEP_3)
	v_cmp_gt_f32_e32 vcc_lo, v40, v21
	v_cndmask_b32_e32 v40, v40, v21, vcc_lo
	v_cmp_gt_f32_e32 vcc_lo, v21, v41
	v_cndmask_b32_e32 v41, v41, v21, vcc_lo
	s_delay_alu instid0(VALU_DEP_3) | instskip(SKIP_1) | instid1(VALU_DEP_3)
	v_cmp_gt_f32_e32 vcc_lo, v40, v22
	v_cndmask_b32_e32 v40, v40, v22, vcc_lo
	v_cmp_gt_f32_e32 vcc_lo, v22, v41
	;; [unrolled: 5-line block ×3, first 2 shown]
	v_cndmask_b32_e32 v41, v41, v23, vcc_lo
	s_wait_loadcnt 0x6
	s_delay_alu instid0(VALU_DEP_3) | instskip(SKIP_1) | instid1(VALU_DEP_3)
	v_cmp_gt_f32_e32 vcc_lo, v40, v12
	v_cndmask_b32_e32 v40, v40, v12, vcc_lo
	v_cmp_gt_f32_e32 vcc_lo, v12, v41
	v_cndmask_b32_e32 v41, v41, v12, vcc_lo
	s_delay_alu instid0(VALU_DEP_3) | instskip(SKIP_1) | instid1(VALU_DEP_3)
	v_cmp_gt_f32_e32 vcc_lo, v40, v13
	v_cndmask_b32_e32 v40, v40, v13, vcc_lo
	v_cmp_gt_f32_e32 vcc_lo, v13, v41
	v_cndmask_b32_e32 v41, v41, v13, vcc_lo
	;; [unrolled: 5-line block ×4, first 2 shown]
	s_wait_loadcnt 0x5
	s_delay_alu instid0(VALU_DEP_3) | instskip(SKIP_1) | instid1(VALU_DEP_3)
	v_cmp_gt_f32_e32 vcc_lo, v40, v4
	v_cndmask_b32_e32 v40, v40, v4, vcc_lo
	v_cmp_gt_f32_e32 vcc_lo, v4, v41
	v_cndmask_b32_e32 v41, v41, v4, vcc_lo
	s_delay_alu instid0(VALU_DEP_3) | instskip(SKIP_1) | instid1(VALU_DEP_3)
	v_cmp_lt_f32_e32 vcc_lo, v5, v40
	v_cndmask_b32_e32 v42, v40, v5, vcc_lo
	v_cmp_gt_f32_e32 vcc_lo, v5, v41
	v_cndmask_b32_e32 v43, v41, v5, vcc_lo
	s_delay_alu instid0(VALU_DEP_3) | instskip(SKIP_2) | instid1(VALU_DEP_4)
	v_cmp_gt_f32_e32 vcc_lo, v42, v6
	v_mul_u64_e32 v[40:41], s[40:41], v[38:39]
	v_cndmask_b32_e32 v42, v42, v6, vcc_lo
	v_cmp_gt_f32_e32 vcc_lo, v6, v43
	v_cndmask_b32_e32 v43, v43, v6, vcc_lo
	s_delay_alu instid0(VALU_DEP_3) | instskip(SKIP_1) | instid1(VALU_DEP_3)
	v_cmp_gt_f32_e32 vcc_lo, v42, v7
	v_cndmask_b32_e32 v42, v42, v7, vcc_lo
	v_cmp_gt_f32_e32 vcc_lo, v7, v43
	v_cndmask_b32_e32 v43, v43, v7, vcc_lo
	s_wait_loadcnt 0x4
	s_delay_alu instid0(VALU_DEP_3) | instskip(SKIP_1) | instid1(VALU_DEP_3)
	v_cmp_gt_f32_e32 vcc_lo, v42, v0
	v_cndmask_b32_e32 v42, v42, v0, vcc_lo
	v_cmp_gt_f32_e32 vcc_lo, v0, v43
	v_sub_nc_u64_e32 v[36:37], v[36:37], v[40:41]
	v_cndmask_b32_e32 v43, v43, v0, vcc_lo
	s_delay_alu instid0(VALU_DEP_4) | instskip(SKIP_1) | instid1(VALU_DEP_3)
	v_cmp_gt_f32_e32 vcc_lo, v42, v1
	v_cndmask_b32_e32 v42, v42, v1, vcc_lo
	v_cmp_gt_f32_e32 vcc_lo, v1, v43
	v_cndmask_b32_e32 v43, v43, v1, vcc_lo
	s_delay_alu instid0(VALU_DEP_3) | instskip(SKIP_1) | instid1(VALU_DEP_3)
	v_cmp_gt_f32_e32 vcc_lo, v42, v2
	v_cndmask_b32_e32 v42, v42, v2, vcc_lo
	v_cmp_gt_f32_e32 vcc_lo, v2, v43
	v_cndmask_b32_e32 v43, v43, v2, vcc_lo
	s_delay_alu instid0(VALU_DEP_3) | instskip(SKIP_1) | instid1(VALU_DEP_3)
	v_cmp_gt_f32_e32 vcc_lo, v42, v3
	v_cndmask_b32_e32 v42, v42, v3, vcc_lo
	v_cmp_gt_f32_e32 vcc_lo, v3, v43
	v_cndmask_b32_e32 v43, v43, v3, vcc_lo
	s_wait_loadcnt 0x3
	s_delay_alu instid0(VALU_DEP_3) | instskip(SKIP_1) | instid1(VALU_DEP_3)
	v_cmp_gt_f32_e32 vcc_lo, v42, v28
	v_cndmask_b32_e32 v40, v42, v28, vcc_lo
	v_cmp_gt_f32_e32 vcc_lo, v28, v43
	v_dual_cndmask_b32 v41, v43, v28 :: v_dual_ashrrev_i32 v42, 31, v37
	s_delay_alu instid0(VALU_DEP_3) | instskip(SKIP_1) | instid1(VALU_DEP_3)
	v_cmp_gt_f32_e32 vcc_lo, v40, v29
	v_cndmask_b32_e32 v43, v40, v29, vcc_lo
	v_cmp_gt_f32_e32 vcc_lo, v29, v41
	s_delay_alu instid0(VALU_DEP_4) | instskip(NEXT) | instid1(VALU_DEP_3)
	v_dual_lshrrev_b32 v40, 27, v42 :: v_dual_cndmask_b32 v44, v41, v29, vcc_lo
	v_cmp_gt_f32_e32 vcc_lo, v43, v30
	v_dual_mov_b32 v41, 0 :: v_dual_cndmask_b32 v42, v43, v30
	s_delay_alu instid0(VALU_DEP_3) | instskip(NEXT) | instid1(VALU_DEP_2)
	v_cmp_gt_f32_e32 vcc_lo, v30, v44
	v_add_nc_u64_e32 v[36:37], v[36:37], v[40:41]
	v_cndmask_b32_e32 v43, v44, v30, vcc_lo
	s_delay_alu instid0(VALU_DEP_4) | instskip(NEXT) | instid1(VALU_DEP_3)
	v_cmp_gt_f32_e32 vcc_lo, v42, v31
	v_ashrrev_i64 v[36:37], 5, v[36:37]
	v_cndmask_b32_e32 v40, v42, v31, vcc_lo
	s_delay_alu instid0(VALU_DEP_4) | instskip(SKIP_2) | instid1(VALU_DEP_3)
	v_cmp_gt_f32_e32 vcc_lo, v31, v43
	v_cndmask_b32_e32 v41, v43, v31, vcc_lo
	s_wait_loadcnt 0x2
	v_cmp_lt_f32_e32 vcc_lo, v24, v40
	v_cndmask_b32_e32 v40, v40, v24, vcc_lo
	s_delay_alu instid0(VALU_DEP_3) | instskip(SKIP_1) | instid1(VALU_DEP_3)
	v_cmp_gt_f32_e32 vcc_lo, v24, v41
	v_cndmask_b32_e32 v41, v41, v24, vcc_lo
	v_cmp_gt_f32_e32 vcc_lo, v40, v25
	v_cndmask_b32_e32 v42, v40, v25, vcc_lo
	s_delay_alu instid0(VALU_DEP_3) | instskip(SKIP_1) | instid1(VALU_DEP_3)
	v_cmp_gt_f32_e32 vcc_lo, v25, v41
	v_cndmask_b32_e32 v43, v41, v25, vcc_lo
	v_cmp_gt_f32_e32 vcc_lo, v42, v26
	v_mad_nc_u64_u32 v[40:41], v36, s46, s[6:7]
	v_cndmask_b32_e32 v42, v42, v26, vcc_lo
	s_delay_alu instid0(VALU_DEP_4) | instskip(SKIP_1) | instid1(VALU_DEP_3)
	v_cmp_gt_f32_e32 vcc_lo, v26, v43
	v_cndmask_b32_e32 v43, v43, v26, vcc_lo
	v_cmp_gt_f32_e32 vcc_lo, v42, v27
	v_mad_u32 v37, v37, s46, v41
	v_cndmask_b32_e32 v42, v42, v27, vcc_lo
	s_delay_alu instid0(VALU_DEP_4) | instskip(SKIP_2) | instid1(VALU_DEP_3)
	v_cmp_gt_f32_e32 vcc_lo, v27, v43
	v_cndmask_b32_e32 v43, v43, v27, vcc_lo
	s_wait_loadcnt 0x1
	v_cmp_gt_f32_e32 vcc_lo, v42, v16
	v_cndmask_b32_e32 v41, v42, v16, vcc_lo
	s_delay_alu instid0(VALU_DEP_3) | instskip(SKIP_1) | instid1(VALU_DEP_3)
	v_cmp_gt_f32_e32 vcc_lo, v16, v43
	v_cndmask_b32_e32 v42, v43, v16, vcc_lo
	v_cmp_gt_f32_e32 vcc_lo, v41, v17
	v_cndmask_b32_e32 v43, v41, v17, vcc_lo
	s_delay_alu instid0(VALU_DEP_3) | instskip(SKIP_2) | instid1(VALU_DEP_4)
	v_cmp_gt_f32_e32 vcc_lo, v17, v42
	v_mad_u32 v41, v36, s47, v37
	v_cndmask_b32_e32 v42, v42, v17, vcc_lo
	v_cmp_gt_f32_e32 vcc_lo, v43, v18
	v_cndmask_b32_e32 v36, v43, v18, vcc_lo
	s_delay_alu instid0(VALU_DEP_3) | instskip(SKIP_2) | instid1(VALU_DEP_4)
	v_cmp_gt_f32_e32 vcc_lo, v18, v42
	v_mad_nc_u64_u32 v[40:41], v38, s48, v[40:41]
	v_cndmask_b32_e32 v37, v42, v18, vcc_lo
	v_cmp_gt_f32_e32 vcc_lo, v36, v19
	v_cndmask_b32_e32 v36, v36, v19, vcc_lo
	s_delay_alu instid0(VALU_DEP_3)
	v_cmp_gt_f32_e32 vcc_lo, v19, v37
	v_mad_u32 v39, v39, s48, v41
	v_cndmask_b32_e32 v37, v37, v19, vcc_lo
	s_wait_loadcnt 0x0
	v_cmp_gt_f32_e32 vcc_lo, v36, v8
	v_cndmask_b32_e32 v36, v36, v8, vcc_lo
	s_delay_alu instid0(VALU_DEP_3) | instskip(SKIP_2) | instid1(VALU_DEP_4)
	v_cmp_gt_f32_e32 vcc_lo, v8, v37
	v_mad_u32 v41, v38, s49, v39
	v_cndmask_b32_e32 v37, v37, v8, vcc_lo
	v_cmp_gt_f32_e32 vcc_lo, v36, v9
	v_cndmask_b32_e32 v36, v36, v9, vcc_lo
	s_delay_alu instid0(VALU_DEP_3) | instskip(SKIP_2) | instid1(VALU_DEP_4)
	v_cmp_gt_f32_e32 vcc_lo, v9, v37
	v_mad_nc_u64_u32 v[38:39], v34, s50, v[40:41]
	v_cndmask_b32_e32 v37, v37, v9, vcc_lo
	v_cmp_gt_f32_e32 vcc_lo, v36, v10
	v_cndmask_b32_e32 v36, v36, v10, vcc_lo
	s_delay_alu instid0(VALU_DEP_3) | instskip(SKIP_2) | instid1(VALU_DEP_4)
	v_cmp_gt_f32_e32 vcc_lo, v10, v37
	v_mad_u32 v35, v35, s50, v39
	v_cndmask_b32_e32 v37, v37, v10, vcc_lo
	v_cmp_gt_f32_e32 vcc_lo, v36, v11
	v_cndmask_b32_e32 v36, v36, v11, vcc_lo
	s_delay_alu instid0(VALU_DEP_3) | instskip(SKIP_1) | instid1(VALU_DEP_3)
	v_cmp_gt_f32_e32 vcc_lo, v11, v37
	v_mad_u32 v39, v34, s51, v35
	v_dual_sub_f32 v28, v28, v36 :: v_dual_sub_f32 v29, v29, v36
	v_dual_cndmask_b32 v37, v37, v11 :: v_dual_sub_f32 v30, v30, v36
	v_dual_sub_f32 v23, v23, v36 :: v_dual_sub_f32 v0, v0, v36
	v_sub_f32_e32 v1, v1, v36
	s_delay_alu instid0(VALU_DEP_3)
	v_sub_f32_e32 v37, v37, v36
	s_wait_kmcnt 0x0
	v_mad_nc_u64_u32 v[34:35], v32, s0, v[38:39]
	v_dual_sub_f32 v31, v31, v36 :: v_dual_sub_f32 v12, v12, v36
	v_dual_sub_f32 v24, v24, v36 :: v_dual_sub_f32 v13, v13, v36
	v_div_scale_f32 v42, null, 0x41700000, 0x41700000, v37
	v_div_scale_f32 v43, vcc_lo, v37, 0x41700000, v37
	v_sub_f32_e32 v22, v22, v36
	s_delay_alu instid0(VALU_DEP_3) | instskip(SKIP_4) | instid1(TRANS32_DEP_1)
	v_rcp_f32_e32 v40, v42
	v_mad_u32 v33, v33, s0, v35
	v_dual_sub_f32 v26, v26, v36 :: v_dual_sub_f32 v15, v15, v36
	v_dual_sub_f32 v4, v4, v36 :: v_dual_sub_f32 v5, v5, v36
	v_dual_sub_f32 v16, v16, v36 :: v_dual_sub_f32 v17, v17, v36
	v_fma_f32 v41, -v42, v40, 1.0
	v_dual_sub_f32 v6, v6, v36 :: v_dual_sub_f32 v7, v7, v36
	v_dual_sub_f32 v18, v18, v36 :: v_dual_sub_f32 v19, v19, v36
	s_delay_alu instid0(VALU_DEP_3) | instskip(SKIP_3) | instid1(VALU_DEP_4)
	v_fmac_f32_e32 v40, v41, v40
	v_mad_u32 v35, v32, s1, v33
	v_dual_sub_f32 v27, v27, v36 :: v_dual_sub_f32 v8, v8, v36
	v_sub_f32_e32 v9, v9, v36
	v_mul_f32_e32 v41, v43, v40
	v_dual_sub_f32 v25, v25, v36 :: v_dual_sub_f32 v14, v14, v36
	v_dual_sub_f32 v20, v20, v36 :: v_dual_sub_f32 v21, v21, v36
	s_delay_alu instid0(VALU_DEP_3) | instskip(NEXT) | instid1(VALU_DEP_1)
	v_fma_f32 v44, -v42, v41, v43
	v_fmac_f32_e32 v41, v44, v40
	s_delay_alu instid0(VALU_DEP_1) | instskip(NEXT) | instid1(VALU_DEP_1)
	v_fma_f32 v42, -v42, v41, v43
	v_div_fmas_f32 v38, v42, v40, v41
	s_delay_alu instid0(VALU_DEP_1) | instskip(NEXT) | instid1(VALU_DEP_1)
	v_div_fixup_f32 v37, v38, 0x41700000, v37
	v_div_scale_f32 v38, null, v37, v37, 1.0
	v_div_scale_f32 v33, vcc_lo, 1.0, v37, 1.0
	s_delay_alu instid0(VALU_DEP_2) | instskip(SKIP_1) | instid1(TRANS32_DEP_1)
	v_rcp_f32_e32 v39, v38
	v_nop
	v_fma_f32 v32, -v38, v39, 1.0
	s_delay_alu instid0(VALU_DEP_1) | instskip(NEXT) | instid1(VALU_DEP_1)
	v_fmac_f32_e32 v39, v32, v39
	v_mul_f32_e32 v32, v33, v39
	s_delay_alu instid0(VALU_DEP_1) | instskip(NEXT) | instid1(VALU_DEP_1)
	v_fma_f32 v40, -v38, v32, v33
	v_fmac_f32_e32 v32, v40, v39
	s_delay_alu instid0(VALU_DEP_1) | instskip(SKIP_1) | instid1(VALU_DEP_2)
	v_fma_f32 v33, -v38, v32, v33
	v_sub_f32_e32 v38, v3, v36
	v_div_fmas_f32 v32, v33, v39, v32
	v_cmp_neq_f32_e32 vcc_lo, 0, v37
	v_sub_f32_e32 v33, v2, v36
	v_dual_sub_f32 v2, v10, v36 :: v_dual_sub_f32 v39, v11, v36
	s_delay_alu instid0(VALU_DEP_4) | instskip(NEXT) | instid1(VALU_DEP_1)
	v_div_fixup_f32 v32, v32, v37, 1.0
	v_cndmask_b32_e32 v32, 0, v32, vcc_lo
	s_delay_alu instid0(VALU_DEP_1)
	v_fma_f32 v3, v28, v32, 0.5
	v_fma_f32 v10, v30, v32, 0.5
	;; [unrolled: 1-line block ×5, first 2 shown]
	v_cvt_i32_f32_e32 v0, v3
	v_cvt_i32_f32_e32 v3, v10
	v_fma_f32 v12, v26, v32, 0.5
	v_fma_f32 v40, v4, v32, 0.5
	;; [unrolled: 1-line block ×8, first 2 shown]
	v_cvt_f64_i32_e32 v[0:1], v0
	v_cvt_f64_i32_e32 v[2:3], v3
	v_fma_f32 v28, v29, v32, 0.5
	v_fma_f32 v29, v31, v32, 0.5
	;; [unrolled: 1-line block ×6, first 2 shown]
	v_cvt_i32_f32_e32 v5, v11
	v_cvt_i32_f32_e32 v7, v12
	;; [unrolled: 1-line block ×6, first 2 shown]
	v_fma_f32 v24, v13, v32, 0.5
	v_fma_f32 v26, v15, v32, 0.5
	v_cvt_f64_i32_e32 v[4:5], v5
	v_cvt_f64_i32_e32 v[6:7], v7
	;; [unrolled: 1-line block ×6, first 2 shown]
	v_fma_f32 v20, v20, v32, 0.5
	v_fma_f32 v21, v21, v32, 0.5
	;; [unrolled: 1-line block ×10, first 2 shown]
	v_min_num_f64_e32 v[0:1], 0x402e0000, v[0:1]
	v_min_num_f64_e32 v[2:3], 0x402e0000, v[2:3]
	v_fma_f32 v32, v39, v32, 0.5
	v_cvt_i32_f32_e32 v20, v20
	v_cvt_i32_f32_e32 v21, v21
	;; [unrolled: 1-line block ×13, first 2 shown]
	v_min_num_f64_e32 v[4:5], 0x402e0000, v[4:5]
	v_min_num_f64_e32 v[6:7], 0x402e0000, v[6:7]
	;; [unrolled: 1-line block ×6, first 2 shown]
	v_cvt_i32_f32_e32 v47, v17
	v_cvt_i32_f32_e32 v57, v41
	;; [unrolled: 1-line block ×9, first 2 shown]
	v_cvt_f64_i32_e32 v[16:17], v20
	v_cvt_f64_i32_e32 v[18:19], v21
	;; [unrolled: 1-line block ×5, first 2 shown]
	v_cvt_i32_f64_e32 v60, v[0:1]
	v_cvt_f64_i32_e32 v[0:1], v54
	v_cvt_i32_f64_e32 v54, v[2:3]
	v_cvt_f64_i32_e32 v[2:3], v55
	v_cvt_i32_f32_e32 v53, v31
	v_cvt_i32_f32_e32 v59, v33
	v_cvt_f64_i32_e32 v[22:23], v22
	v_cvt_f64_i32_e32 v[32:33], v40
	;; [unrolled: 1-line block ×11, first 2 shown]
	v_cvt_i32_f64_e32 v55, v[4:5]
	v_cvt_f64_i32_e32 v[4:5], v52
	v_cvt_i32_f64_e32 v52, v[6:7]
	v_cvt_f64_i32_e32 v[6:7], v53
	;; [unrolled: 2-line block ×6, first 2 shown]
	v_min_num_f64_e32 v[18:19], 0x402e0000, v[18:19]
	v_min_num_f64_e32 v[20:21], 0x402e0000, v[20:21]
	;; [unrolled: 1-line block ×24, first 2 shown]
	v_cvt_i32_f64_e32 v0, v[0:1]
	v_cvt_i32_f64_e32 v16, v[16:17]
	;; [unrolled: 1-line block ×20, first 2 shown]
	v_lshlrev_b16 v20, 4, v57
	v_cvt_i32_f64_e32 v6, v[8:9]
	v_lshlrev_b16 v21, 4, v58
	v_cvt_i32_f64_e32 v7, v[10:11]
	;; [unrolled: 2-line block ×4, first 2 shown]
	v_lshlrev_b16 v13, 4, v52
	v_lshlrev_b16 v15, 4, v56
	;; [unrolled: 1-line block ×16, first 2 shown]
	v_or_b32_e32 v11, v11, v17
	v_or_b32_e32 v0, v1, v0
	;; [unrolled: 1-line block ×4, first 2 shown]
	v_lshlrev_b16 v26, 8, v40
	v_lshlrev_b16 v27, 12, v41
	;; [unrolled: 1-line block ×4, first 2 shown]
	v_or_b32_e32 v5, v13, v5
	v_or_b32_e32 v13, v25, v24
	;; [unrolled: 1-line block ×5, first 2 shown]
	v_bitop3_b16 v2, v11, v2, 0xff bitop3:0xec
	v_or_b32_e32 v4, v12, v4
	v_or_b32_e32 v9, v21, v9
	;; [unrolled: 1-line block ×3, first 2 shown]
	v_bitop3_b16 v7, v7, v15, 0xff bitop3:0xec
	v_or_b32_e32 v10, v10, v16
	v_or_b32_e32 v16, v29, v28
	v_bitop3_b16 v0, v5, v0, 0xff bitop3:0xec
	v_bitop3_b16 v3, v8, v12, 0xff bitop3:0xec
	;; [unrolled: 1-line block ×3, first 2 shown]
	v_or_b32_e32 v6, v14, v6
	v_dual_lshlrev_b32 v7, 16, v7 :: v_dual_bitop2_b32 v14, v27, v26 bitop3:0x54
	v_bitop3_b16 v1, v10, v1, 0xff bitop3:0xec
	s_delay_alu instid0(VALU_DEP_4) | instskip(NEXT) | instid1(VALU_DEP_3)
	v_dual_lshlrev_b32 v5, 16, v8 :: v_dual_lshlrev_b32 v9, 16, v2
	v_bitop3_b16 v6, v6, v14, 0xff bitop3:0xec
	v_bitop3_b16 v4, v4, v16, 0xff bitop3:0xec
	v_and_b32_e32 v3, 0xffff, v3
	v_lshlrev_b32_e32 v0, 16, v0
	v_and_b32_e32 v8, 0xffff, v1
	v_and_b32_e32 v6, 0xffff, v6
	;; [unrolled: 1-line block ×3, first 2 shown]
	v_cvt_pk_f16_f32 v10, v37, v36
	v_or_b32_e32 v3, v3, v5
	s_delay_alu instid0(VALU_DEP_4) | instskip(NEXT) | instid1(VALU_DEP_4)
	v_or_b32_e32 v2, v6, v7
	v_or_b32_e32 v1, v4, v0
	;; [unrolled: 1-line block ×3, first 2 shown]
	s_clause 0x1
	global_store_b32 v[34:35], v10, off
	global_store_b128 v[34:35], v[0:3], off offset:4
.LBB4_26:
	s_endpgm
	.section	.rodata,"a",@progbits
	.p2align	6, 0x0
	.amdhsa_kernel _ZL9cpy_f32_qIXadL_ZL17cpy_blck_f32_q4_1PKcPcEELi32EEvS1_S2_lllllllllllllll
		.amdhsa_group_segment_fixed_size 0
		.amdhsa_private_segment_fixed_size 0
		.amdhsa_kernarg_size 392
		.amdhsa_user_sgpr_count 2
		.amdhsa_user_sgpr_dispatch_ptr 0
		.amdhsa_user_sgpr_queue_ptr 0
		.amdhsa_user_sgpr_kernarg_segment_ptr 1
		.amdhsa_user_sgpr_dispatch_id 0
		.amdhsa_user_sgpr_kernarg_preload_length 0
		.amdhsa_user_sgpr_kernarg_preload_offset 0
		.amdhsa_user_sgpr_private_segment_size 0
		.amdhsa_wavefront_size32 1
		.amdhsa_uses_dynamic_stack 0
		.amdhsa_enable_private_segment 0
		.amdhsa_system_sgpr_workgroup_id_x 1
		.amdhsa_system_sgpr_workgroup_id_y 0
		.amdhsa_system_sgpr_workgroup_id_z 0
		.amdhsa_system_sgpr_workgroup_info 0
		.amdhsa_system_vgpr_workitem_id 0
		.amdhsa_next_free_vgpr 61
		.amdhsa_next_free_sgpr 52
		.amdhsa_named_barrier_count 0
		.amdhsa_reserve_vcc 1
		.amdhsa_float_round_mode_32 0
		.amdhsa_float_round_mode_16_64 0
		.amdhsa_float_denorm_mode_32 3
		.amdhsa_float_denorm_mode_16_64 3
		.amdhsa_fp16_overflow 0
		.amdhsa_memory_ordered 1
		.amdhsa_forward_progress 1
		.amdhsa_inst_pref_size 59
		.amdhsa_round_robin_scheduling 0
		.amdhsa_exception_fp_ieee_invalid_op 0
		.amdhsa_exception_fp_denorm_src 0
		.amdhsa_exception_fp_ieee_div_zero 0
		.amdhsa_exception_fp_ieee_overflow 0
		.amdhsa_exception_fp_ieee_underflow 0
		.amdhsa_exception_fp_ieee_inexact 0
		.amdhsa_exception_int_div_zero 0
	.end_amdhsa_kernel
	.section	.text._ZL9cpy_f32_qIXadL_ZL17cpy_blck_f32_q4_1PKcPcEELi32EEvS1_S2_lllllllllllllll,"axG",@progbits,_ZL9cpy_f32_qIXadL_ZL17cpy_blck_f32_q4_1PKcPcEELi32EEvS1_S2_lllllllllllllll,comdat
.Lfunc_end4:
	.size	_ZL9cpy_f32_qIXadL_ZL17cpy_blck_f32_q4_1PKcPcEELi32EEvS1_S2_lllllllllllllll, .Lfunc_end4-_ZL9cpy_f32_qIXadL_ZL17cpy_blck_f32_q4_1PKcPcEELi32EEvS1_S2_lllllllllllllll
                                        ; -- End function
	.set _ZL9cpy_f32_qIXadL_ZL17cpy_blck_f32_q4_1PKcPcEELi32EEvS1_S2_lllllllllllllll.num_vgpr, 61
	.set _ZL9cpy_f32_qIXadL_ZL17cpy_blck_f32_q4_1PKcPcEELi32EEvS1_S2_lllllllllllllll.num_agpr, 0
	.set _ZL9cpy_f32_qIXadL_ZL17cpy_blck_f32_q4_1PKcPcEELi32EEvS1_S2_lllllllllllllll.numbered_sgpr, 52
	.set _ZL9cpy_f32_qIXadL_ZL17cpy_blck_f32_q4_1PKcPcEELi32EEvS1_S2_lllllllllllllll.num_named_barrier, 0
	.set _ZL9cpy_f32_qIXadL_ZL17cpy_blck_f32_q4_1PKcPcEELi32EEvS1_S2_lllllllllllllll.private_seg_size, 0
	.set _ZL9cpy_f32_qIXadL_ZL17cpy_blck_f32_q4_1PKcPcEELi32EEvS1_S2_lllllllllllllll.uses_vcc, 1
	.set _ZL9cpy_f32_qIXadL_ZL17cpy_blck_f32_q4_1PKcPcEELi32EEvS1_S2_lllllllllllllll.uses_flat_scratch, 0
	.set _ZL9cpy_f32_qIXadL_ZL17cpy_blck_f32_q4_1PKcPcEELi32EEvS1_S2_lllllllllllllll.has_dyn_sized_stack, 0
	.set _ZL9cpy_f32_qIXadL_ZL17cpy_blck_f32_q4_1PKcPcEELi32EEvS1_S2_lllllllllllllll.has_recursion, 0
	.set _ZL9cpy_f32_qIXadL_ZL17cpy_blck_f32_q4_1PKcPcEELi32EEvS1_S2_lllllllllllllll.has_indirect_call, 0
	.section	.AMDGPU.csdata,"",@progbits
; Kernel info:
; codeLenInByte = 7488
; TotalNumSgprs: 54
; NumVgprs: 61
; ScratchSize: 0
; MemoryBound: 0
; FloatMode: 240
; IeeeMode: 1
; LDSByteSize: 0 bytes/workgroup (compile time only)
; SGPRBlocks: 0
; VGPRBlocks: 3
; NumSGPRsForWavesPerEU: 54
; NumVGPRsForWavesPerEU: 61
; NamedBarCnt: 0
; Occupancy: 16
; WaveLimiterHint : 0
; COMPUTE_PGM_RSRC2:SCRATCH_EN: 0
; COMPUTE_PGM_RSRC2:USER_SGPR: 2
; COMPUTE_PGM_RSRC2:TRAP_HANDLER: 0
; COMPUTE_PGM_RSRC2:TGID_X_EN: 1
; COMPUTE_PGM_RSRC2:TGID_Y_EN: 0
; COMPUTE_PGM_RSRC2:TGID_Z_EN: 0
; COMPUTE_PGM_RSRC2:TIDIG_COMP_CNT: 0
	.section	.text._ZL9cpy_q_f32IXadL_ZL14cpy_blck_q_f32IXadL_ZL15dequantize_q4_1PKvliR15HIP_vector_typeIfLj2EEEELi32EEvPKcPcEELi32EEvS7_S8_lllllllllllllll,"axG",@progbits,_ZL9cpy_q_f32IXadL_ZL14cpy_blck_q_f32IXadL_ZL15dequantize_q4_1PKvliR15HIP_vector_typeIfLj2EEEELi32EEvPKcPcEELi32EEvS7_S8_lllllllllllllll,comdat
	.globl	_ZL9cpy_q_f32IXadL_ZL14cpy_blck_q_f32IXadL_ZL15dequantize_q4_1PKvliR15HIP_vector_typeIfLj2EEEELi32EEvPKcPcEELi32EEvS7_S8_lllllllllllllll ; -- Begin function _ZL9cpy_q_f32IXadL_ZL14cpy_blck_q_f32IXadL_ZL15dequantize_q4_1PKvliR15HIP_vector_typeIfLj2EEEELi32EEvPKcPcEELi32EEvS7_S8_lllllllllllllll
	.p2align	8
	.type	_ZL9cpy_q_f32IXadL_ZL14cpy_blck_q_f32IXadL_ZL15dequantize_q4_1PKvliR15HIP_vector_typeIfLj2EEEELi32EEvPKcPcEELi32EEvS7_S8_lllllllllllllll,@function
_ZL9cpy_q_f32IXadL_ZL14cpy_blck_q_f32IXadL_ZL15dequantize_q4_1PKvliR15HIP_vector_typeIfLj2EEEELi32EEvPKcPcEELi32EEvS7_S8_lllllllllllllll: ; @_ZL9cpy_q_f32IXadL_ZL14cpy_blck_q_f32IXadL_ZL15dequantize_q4_1PKvliR15HIP_vector_typeIfLj2EEEELi32EEvPKcPcEELi32EEvS7_S8_lllllllllllllll
; %bb.0:
	s_load_b32 s2, s[0:1], 0x94
	s_bfe_u32 s3, ttmp6, 0x4000c
	v_mov_b32_e32 v2, 0
	s_add_co_i32 s3, s3, 1
	s_and_b32 s4, ttmp6, 15
	s_mul_i32 s3, ttmp9, s3
	s_getreg_b32 s5, hwreg(HW_REG_IB_STS2, 6, 4)
	v_mov_b32_e32 v1, v2
	s_add_co_i32 s3, s4, s3
	s_wait_kmcnt 0x0
	s_and_b32 s2, s2, 0xffff
	s_cmp_eq_u32 s5, 0
	s_load_b512 s[4:19], s[0:1], 0x0
	s_cselect_b32 s3, ttmp9, s3
	s_delay_alu instid0(SALU_CYCLE_1) | instskip(SKIP_1) | instid1(VALU_DEP_1)
	v_mad_nc_u64_u32 v[0:1], s2, s3, v[0:1]
	s_mov_b32 s2, exec_lo
	v_lshlrev_b64_e32 v[4:5], 5, v[0:1]
	s_wait_kmcnt 0x0
	s_delay_alu instid0(VALU_DEP_1)
	v_cmpx_gt_i64_e64 s[8:9], v[4:5]
	s_cbranch_execz .LBB5_26
; %bb.1:
	s_mul_u64 s[8:9], s[12:13], s[10:11]
                                        ; implicit-def: $vgpr0_vgpr1
	s_mov_b32 s2, exec_lo
	s_mul_u64 s[12:13], s[8:9], s[14:15]
	s_delay_alu instid0(SALU_CYCLE_1) | instskip(NEXT) | instid1(VALU_DEP_1)
	v_dual_ashrrev_i32 v8, 31, v5 :: v_dual_bitop2_b32 v3, s13, v5 bitop3:0x54
	v_cmpx_ne_u64_e32 0, v[2:3]
	s_xor_b32 s3, exec_lo, s2
	s_cbranch_execz .LBB5_3
; %bb.2:
	s_ashr_i32 s14, s13, 31
	s_mov_b32 s29, 0
	s_mov_b32 s15, s14
	v_dual_mov_b32 v9, v8 :: v_dual_mov_b32 v3, 0
	s_add_nc_u64 s[20:21], s[12:13], s[14:15]
	s_delay_alu instid0(SALU_CYCLE_1) | instskip(NEXT) | instid1(VALU_DEP_1)
	s_xor_b64 s[20:21], s[20:21], s[14:15]
	v_add_nc_u64_e32 v[0:1], v[4:5], v[8:9]
	s_cvt_f32_u32 s2, s20
	s_cvt_f32_u32 s15, s21
	s_sub_nc_u64 s[24:25], 0, s[20:21]
	v_dual_mov_b32 v7, v3 :: v_dual_mov_b32 v15, v3
	s_delay_alu instid0(SALU_CYCLE_1) | instskip(NEXT) | instid1(VALU_DEP_2)
	s_fmamk_f32 s2, s15, 0x4f800000, s2
	v_xor_b32_e32 v2, v0, v8
	v_xor_b32_e32 v6, v1, v8
	s_delay_alu instid0(SALU_CYCLE_1) | instskip(NEXT) | instid1(TRANS32_DEP_1)
	v_s_rcp_f32 s2, s2
	s_mul_f32 s2, s2, 0x5f7ffffc
	s_delay_alu instid0(SALU_CYCLE_3) | instskip(NEXT) | instid1(SALU_CYCLE_3)
	s_mul_f32 s15, s2, 0x2f800000
	s_trunc_f32 s15, s15
	s_delay_alu instid0(SALU_CYCLE_3) | instskip(SKIP_1) | instid1(SALU_CYCLE_2)
	s_fmamk_f32 s2, s15, 0xcf800000, s2
	s_cvt_u32_f32 s23, s15
	s_cvt_u32_f32 s22, s2
	s_delay_alu instid0(SALU_CYCLE_3) | instskip(NEXT) | instid1(SALU_CYCLE_1)
	s_mul_u64 s[26:27], s[24:25], s[22:23]
	s_mul_hi_u32 s31, s22, s27
	s_mul_i32 s30, s22, s27
	s_mul_hi_u32 s28, s22, s26
	s_mul_i32 s15, s23, s26
	s_add_nc_u64 s[30:31], s[28:29], s[30:31]
	s_mul_hi_u32 s2, s23, s26
	s_mul_hi_u32 s33, s23, s27
	s_add_co_u32 s15, s30, s15
	s_add_co_ci_u32 s28, s31, s2
	s_mul_i32 s26, s23, s27
	s_add_co_ci_u32 s27, s33, 0
	s_delay_alu instid0(SALU_CYCLE_1) | instskip(NEXT) | instid1(SALU_CYCLE_1)
	s_add_nc_u64 s[26:27], s[28:29], s[26:27]
	s_add_co_u32 s22, s22, s26
	s_cselect_b32 s2, -1, 0
	s_delay_alu instid0(SALU_CYCLE_1) | instskip(SKIP_1) | instid1(SALU_CYCLE_1)
	s_cmp_lg_u32 s2, 0
	s_add_co_ci_u32 s23, s23, s27
	s_mul_u64 s[24:25], s[24:25], s[22:23]
	s_delay_alu instid0(SALU_CYCLE_1)
	s_mul_hi_u32 s27, s22, s25
	s_mul_i32 s26, s22, s25
	s_mul_hi_u32 s28, s22, s24
	s_mul_i32 s15, s23, s24
	s_add_nc_u64 s[26:27], s[28:29], s[26:27]
	s_mul_hi_u32 s2, s23, s24
	s_mul_hi_u32 s30, s23, s25
	s_add_co_u32 s15, s26, s15
	s_add_co_ci_u32 s28, s27, s2
	s_mul_i32 s24, s23, s25
	s_add_co_ci_u32 s25, s30, 0
	s_delay_alu instid0(SALU_CYCLE_1) | instskip(NEXT) | instid1(SALU_CYCLE_1)
	s_add_nc_u64 s[24:25], s[28:29], s[24:25]
	s_add_co_u32 s2, s22, s24
	s_cselect_b32 s15, -1, 0
	v_nop
	v_mul_hi_u32 v14, v2, s2
	s_cmp_lg_u32 s15, 0
	s_add_co_ci_u32 s28, s23, s25
	s_mov_b64 s[22:23], 0xffffffff
	v_mul_u64_e32 v[10:11], s[28:29], v[2:3]
	s_and_b64 s[22:23], s[2:3], s[22:23]
	v_mul_u64_e32 v[12:13], s[28:29], v[6:7]
	v_mul_u64_e32 v[0:1], s[22:23], v[6:7]
	s_delay_alu instid0(VALU_DEP_3) | instskip(NEXT) | instid1(VALU_DEP_1)
	v_add_nc_u64_e32 v[10:11], v[14:15], v[10:11]
	v_add_co_u32 v0, vcc_lo, v10, v0
	s_delay_alu instid0(VALU_DEP_2) | instskip(SKIP_1) | instid1(VALU_DEP_1)
	v_add_co_ci_u32_e32 v14, vcc_lo, v11, v1, vcc_lo
	v_add_co_ci_u32_e32 v13, vcc_lo, 0, v13, vcc_lo
	v_add_nc_u64_e32 v[0:1], v[14:15], v[12:13]
	s_delay_alu instid0(VALU_DEP_1) | instskip(NEXT) | instid1(VALU_DEP_1)
	v_mul_u64_e32 v[10:11], s[20:21], v[0:1]
	v_sub_nc_u32_e32 v3, v6, v11
	s_delay_alu instid0(VALU_DEP_2) | instskip(NEXT) | instid1(VALU_DEP_1)
	v_sub_co_u32 v2, vcc_lo, v2, v10
	v_sub_co_ci_u32_e64 v9, null, v6, v11, vcc_lo
	s_delay_alu instid0(VALU_DEP_3) | instskip(NEXT) | instid1(VALU_DEP_3)
	v_subrev_co_ci_u32_e64 v3, null, s21, v3, vcc_lo
	v_sub_co_u32 v7, s2, v2, s20
	s_delay_alu instid0(VALU_DEP_1) | instskip(NEXT) | instid1(VALU_DEP_2)
	v_subrev_co_ci_u32_e64 v3, null, 0, v3, s2
	v_cmp_le_u32_e32 vcc_lo, s20, v7
	v_cndmask_b32_e64 v6, 0, -1, vcc_lo
	s_delay_alu instid0(VALU_DEP_3)
	v_cmp_le_u32_e32 vcc_lo, s21, v3
	v_cndmask_b32_e64 v7, 0, -1, vcc_lo
	v_cmp_le_u32_e32 vcc_lo, s20, v2
	v_cndmask_b32_e64 v10, 0, -1, vcc_lo
	;; [unrolled: 2-line block ×3, first 2 shown]
	v_cmp_eq_u32_e32 vcc_lo, s21, v3
	v_add_nc_u64_e32 v[2:3], 2, v[0:1]
	v_cndmask_b32_e32 v12, v7, v6, vcc_lo
	v_cmp_eq_u32_e32 vcc_lo, s21, v9
	v_add_nc_u64_e32 v[6:7], 1, v[0:1]
	v_cndmask_b32_e32 v9, v11, v10, vcc_lo
	s_delay_alu instid0(VALU_DEP_4) | instskip(NEXT) | instid1(VALU_DEP_3)
	v_cmp_ne_u32_e32 vcc_lo, 0, v12
	v_dual_cndmask_b32 v3, v7, v3 :: v_dual_cndmask_b32 v6, v6, v2
	v_xor_b32_e32 v2, s14, v8
	s_delay_alu instid0(VALU_DEP_4) | instskip(NEXT) | instid1(VALU_DEP_1)
	v_cmp_ne_u32_e64 s2, 0, v9
	v_dual_cndmask_b32 v1, v1, v3, s2 :: v_dual_cndmask_b32 v0, v0, v6, s2
	s_delay_alu instid0(VALU_DEP_1) | instskip(NEXT) | instid1(VALU_DEP_2)
	v_dual_mov_b32 v3, v2 :: v_dual_bitop2_b32 v1, v1, v2 bitop3:0x14
	v_xor_b32_e32 v0, v0, v2
	s_delay_alu instid0(VALU_DEP_1)
	v_sub_nc_u64_e32 v[0:1], v[0:1], v[2:3]
.LBB5_3:
	s_and_not1_saveexec_b32 s2, s3
	s_cbranch_execz .LBB5_5
; %bb.4:
	v_cvt_f32_u32_e32 v0, s12
	s_sub_co_i32 s3, 0, s12
	s_delay_alu instid0(VALU_DEP_1) | instskip(SKIP_1) | instid1(TRANS32_DEP_1)
	v_rcp_iflag_f32_e32 v0, v0
	v_nop
	v_mul_f32_e32 v0, 0x4f7ffffe, v0
	s_delay_alu instid0(VALU_DEP_1) | instskip(NEXT) | instid1(VALU_DEP_1)
	v_cvt_u32_f32_e32 v0, v0
	v_mul_lo_u32 v1, s3, v0
	s_delay_alu instid0(VALU_DEP_1) | instskip(NEXT) | instid1(VALU_DEP_1)
	v_mul_hi_u32 v1, v0, v1
	v_add_nc_u32_e32 v0, v0, v1
	s_delay_alu instid0(VALU_DEP_1) | instskip(NEXT) | instid1(VALU_DEP_1)
	v_mul_hi_u32 v0, v4, v0
	v_mul_lo_u32 v1, v0, s12
	s_delay_alu instid0(VALU_DEP_1) | instskip(NEXT) | instid1(VALU_DEP_1)
	v_dual_add_nc_u32 v2, 1, v0 :: v_dual_sub_nc_u32 v1, v4, v1
	v_subrev_nc_u32_e32 v3, s12, v1
	v_cmp_le_u32_e32 vcc_lo, s12, v1
	s_delay_alu instid0(VALU_DEP_2) | instskip(NEXT) | instid1(VALU_DEP_1)
	v_dual_cndmask_b32 v1, v1, v3 :: v_dual_cndmask_b32 v0, v0, v2
	v_cmp_le_u32_e32 vcc_lo, s12, v1
	s_delay_alu instid0(VALU_DEP_2) | instskip(NEXT) | instid1(VALU_DEP_1)
	v_dual_mov_b32 v1, 0 :: v_dual_add_nc_u32 v2, 1, v0
	v_cndmask_b32_e32 v0, v0, v2, vcc_lo
.LBB5_5:
	s_or_b32 exec_lo, exec_lo, s2
	s_delay_alu instid0(VALU_DEP_1) | instskip(SKIP_2) | instid1(VALU_DEP_2)
	v_mul_u64_e32 v[2:3], s[12:13], v[0:1]
	s_mov_b32 s2, exec_lo
	v_mov_b32_e32 v10, 0
	v_sub_nc_u64_e32 v[6:7], v[4:5], v[2:3]
                                        ; implicit-def: $vgpr2_vgpr3
	s_delay_alu instid0(VALU_DEP_1) | instskip(NEXT) | instid1(VALU_DEP_1)
	v_or_b32_e32 v11, s9, v7
	v_cmpx_ne_u64_e32 0, v[10:11]
	s_xor_b32 s3, exec_lo, s2
	s_cbranch_execz .LBB5_7
; %bb.6:
	s_ashr_i32 s12, s9, 31
	s_mov_b32 s27, 0
	s_mov_b32 s13, s12
	v_dual_mov_b32 v15, v10 :: v_dual_ashrrev_i32 v2, 31, v7
	s_add_nc_u64 s[14:15], s[8:9], s[12:13]
	v_dual_mov_b32 v23, v10 :: v_dual_mov_b32 v11, v10
	s_xor_b64 s[14:15], s[14:15], s[12:13]
	s_delay_alu instid0(VALU_DEP_2) | instskip(SKIP_3) | instid1(VALU_DEP_1)
	v_mov_b32_e32 v3, v2
	s_cvt_f32_u32 s2, s14
	s_cvt_f32_u32 s13, s15
	s_sub_nc_u64 s[22:23], 0, s[14:15]
	v_add_nc_u64_e32 v[12:13], v[6:7], v[2:3]
	s_delay_alu instid0(SALU_CYCLE_1) | instskip(SKIP_1) | instid1(SALU_CYCLE_2)
	s_fmamk_f32 s2, s13, 0x4f800000, s2
	v_mov_b32_e32 v17, v10
	v_s_rcp_f32 s2, s2
	s_delay_alu instid0(VALU_DEP_2) | instskip(NEXT) | instid1(VALU_DEP_3)
	v_xor_b32_e32 v14, v12, v2
	v_xor_b32_e32 v16, v13, v2
	;; [unrolled: 1-line block ×3, first 2 shown]
	s_delay_alu instid0(TRANS32_DEP_1) | instskip(NEXT) | instid1(SALU_CYCLE_3)
	s_mul_f32 s2, s2, 0x5f7ffffc
	s_mul_f32 s13, s2, 0x2f800000
	s_delay_alu instid0(SALU_CYCLE_3) | instskip(NEXT) | instid1(SALU_CYCLE_3)
	s_trunc_f32 s13, s13
	s_fmamk_f32 s2, s13, 0xcf800000, s2
	s_cvt_u32_f32 s21, s13
	s_delay_alu instid0(SALU_CYCLE_2) | instskip(NEXT) | instid1(SALU_CYCLE_3)
	s_cvt_u32_f32 s20, s2
	s_mul_u64 s[24:25], s[22:23], s[20:21]
	s_delay_alu instid0(SALU_CYCLE_1)
	s_mul_hi_u32 s29, s20, s25
	s_mul_i32 s28, s20, s25
	s_mul_hi_u32 s26, s20, s24
	s_mul_i32 s13, s21, s24
	s_add_nc_u64 s[28:29], s[26:27], s[28:29]
	s_mul_hi_u32 s2, s21, s24
	s_mul_hi_u32 s30, s21, s25
	s_add_co_u32 s13, s28, s13
	s_add_co_ci_u32 s26, s29, s2
	s_mul_i32 s24, s21, s25
	s_add_co_ci_u32 s25, s30, 0
	s_delay_alu instid0(SALU_CYCLE_1) | instskip(NEXT) | instid1(SALU_CYCLE_1)
	s_add_nc_u64 s[24:25], s[26:27], s[24:25]
	s_add_co_u32 s20, s20, s24
	s_cselect_b32 s2, -1, 0
	s_delay_alu instid0(SALU_CYCLE_1) | instskip(SKIP_1) | instid1(SALU_CYCLE_1)
	s_cmp_lg_u32 s2, 0
	s_add_co_ci_u32 s21, s21, s25
	s_mul_u64 s[22:23], s[22:23], s[20:21]
	s_delay_alu instid0(SALU_CYCLE_1)
	s_mul_hi_u32 s25, s20, s23
	s_mul_i32 s24, s20, s23
	s_mul_hi_u32 s26, s20, s22
	s_mul_i32 s13, s21, s22
	s_add_nc_u64 s[24:25], s[26:27], s[24:25]
	s_mul_hi_u32 s2, s21, s22
	s_mul_hi_u32 s28, s21, s23
	s_add_co_u32 s13, s24, s13
	s_add_co_ci_u32 s26, s25, s2
	s_mul_i32 s22, s21, s23
	s_add_co_ci_u32 s23, s28, 0
	s_delay_alu instid0(SALU_CYCLE_1) | instskip(NEXT) | instid1(SALU_CYCLE_1)
	s_add_nc_u64 s[22:23], s[26:27], s[22:23]
	s_add_co_u32 s2, s20, s22
	s_cselect_b32 s13, -1, 0
	v_mul_hi_u32 v22, v14, s2
	s_cmp_lg_u32 s13, 0
	s_add_co_ci_u32 s26, s21, s23
	s_mov_b64 s[20:21], 0xffffffff
	v_mul_u64_e32 v[18:19], s[26:27], v[14:15]
	s_and_b64 s[20:21], s[2:3], s[20:21]
	v_mul_u64_e32 v[20:21], s[26:27], v[16:17]
	v_mul_u64_e32 v[12:13], s[20:21], v[16:17]
	s_delay_alu instid0(VALU_DEP_3) | instskip(NEXT) | instid1(VALU_DEP_1)
	v_add_nc_u64_e32 v[18:19], v[22:23], v[18:19]
	v_add_co_u32 v3, vcc_lo, v18, v12
	s_delay_alu instid0(VALU_DEP_2) | instskip(SKIP_1) | instid1(VALU_DEP_1)
	v_add_co_ci_u32_e32 v10, vcc_lo, v19, v13, vcc_lo
	v_add_co_ci_u32_e32 v21, vcc_lo, 0, v21, vcc_lo
	v_add_nc_u64_e32 v[10:11], v[10:11], v[20:21]
	s_delay_alu instid0(VALU_DEP_1) | instskip(NEXT) | instid1(VALU_DEP_1)
	v_mul_u64_e32 v[12:13], s[14:15], v[10:11]
	v_sub_co_u32 v9, vcc_lo, v14, v12
	v_add_nc_u64_e32 v[14:15], 1, v[10:11]
	s_delay_alu instid0(VALU_DEP_3) | instskip(SKIP_1) | instid1(VALU_DEP_4)
	v_sub_nc_u32_e32 v3, v16, v13
	v_sub_co_ci_u32_e64 v16, null, v16, v13, vcc_lo
	v_sub_co_u32 v12, s2, v9, s14
	s_delay_alu instid0(VALU_DEP_3) | instskip(NEXT) | instid1(VALU_DEP_2)
	v_subrev_co_ci_u32_e64 v3, null, s15, v3, vcc_lo
	v_cmp_le_u32_e32 vcc_lo, s14, v12
	s_delay_alu instid0(VALU_DEP_2) | instskip(SKIP_1) | instid1(VALU_DEP_2)
	v_subrev_co_ci_u32_e64 v3, null, 0, v3, s2
	v_cndmask_b32_e64 v12, 0, -1, vcc_lo
	v_cmp_le_u32_e32 vcc_lo, s15, v3
	v_cndmask_b32_e64 v13, 0, -1, vcc_lo
	v_cmp_le_u32_e32 vcc_lo, s14, v9
	;; [unrolled: 2-line block ×3, first 2 shown]
	v_cndmask_b32_e64 v17, 0, -1, vcc_lo
	v_cmp_eq_u32_e32 vcc_lo, s15, v3
	v_cndmask_b32_e32 v3, v13, v12, vcc_lo
	v_cmp_eq_u32_e32 vcc_lo, s15, v16
	v_add_nc_u64_e32 v[12:13], 2, v[10:11]
	v_cndmask_b32_e32 v9, v17, v9, vcc_lo
	s_delay_alu instid0(VALU_DEP_4) | instskip(NEXT) | instid1(VALU_DEP_2)
	v_cmp_ne_u32_e32 vcc_lo, 0, v3
	v_cmp_ne_u32_e64 s2, 0, v9
	s_delay_alu instid0(VALU_DEP_4) | instskip(NEXT) | instid1(VALU_DEP_1)
	v_cndmask_b32_e32 v9, v14, v12, vcc_lo
	v_cndmask_b32_e64 v9, v10, v9, s2
	s_delay_alu instid0(VALU_DEP_1) | instskip(NEXT) | instid1(VALU_DEP_1)
	v_dual_cndmask_b32 v3, v15, v13, vcc_lo :: v_dual_bitop2_b32 v10, v9, v2 bitop3:0x14
	v_dual_cndmask_b32 v11, v11, v3, s2 :: v_dual_mov_b32 v3, v2
	s_delay_alu instid0(VALU_DEP_1) | instskip(NEXT) | instid1(VALU_DEP_1)
	v_xor_b32_e32 v11, v11, v2
	v_sub_nc_u64_e32 v[2:3], v[10:11], v[2:3]
.LBB5_7:
	s_and_not1_saveexec_b32 s2, s3
	s_cbranch_execz .LBB5_9
; %bb.8:
	v_cvt_f32_u32_e32 v2, s8
	s_sub_co_i32 s3, 0, s8
	s_delay_alu instid0(VALU_DEP_1) | instskip(SKIP_1) | instid1(TRANS32_DEP_1)
	v_rcp_iflag_f32_e32 v2, v2
	v_nop
	v_mul_f32_e32 v2, 0x4f7ffffe, v2
	s_delay_alu instid0(VALU_DEP_1) | instskip(NEXT) | instid1(VALU_DEP_1)
	v_cvt_u32_f32_e32 v2, v2
	v_mul_lo_u32 v3, s3, v2
	s_delay_alu instid0(VALU_DEP_1) | instskip(NEXT) | instid1(VALU_DEP_1)
	v_mul_hi_u32 v3, v2, v3
	v_add_nc_u32_e32 v2, v2, v3
	s_delay_alu instid0(VALU_DEP_1) | instskip(NEXT) | instid1(VALU_DEP_1)
	v_mul_hi_u32 v2, v6, v2
	v_mul_lo_u32 v3, v2, s8
	s_delay_alu instid0(VALU_DEP_1) | instskip(NEXT) | instid1(VALU_DEP_1)
	v_dual_add_nc_u32 v9, 1, v2 :: v_dual_sub_nc_u32 v3, v6, v3
	v_subrev_nc_u32_e32 v10, s8, v3
	v_cmp_le_u32_e32 vcc_lo, s8, v3
	s_delay_alu instid0(VALU_DEP_2) | instskip(NEXT) | instid1(VALU_DEP_1)
	v_dual_cndmask_b32 v3, v3, v10 :: v_dual_cndmask_b32 v2, v2, v9
	v_cmp_le_u32_e32 vcc_lo, s8, v3
	s_delay_alu instid0(VALU_DEP_2) | instskip(NEXT) | instid1(VALU_DEP_1)
	v_dual_add_nc_u32 v9, 1, v2 :: v_dual_mov_b32 v3, 0
	v_cndmask_b32_e32 v2, v2, v9, vcc_lo
.LBB5_9:
	s_or_b32 exec_lo, exec_lo, s2
	s_delay_alu instid0(VALU_DEP_1) | instskip(SKIP_2) | instid1(VALU_DEP_2)
	v_mul_u64_e32 v[10:11], s[8:9], v[2:3]
	s_mov_b32 s2, exec_lo
	v_mov_b32_e32 v12, 0
	v_sub_nc_u64_e32 v[6:7], v[6:7], v[10:11]
                                        ; implicit-def: $vgpr10_vgpr11
	s_delay_alu instid0(VALU_DEP_1) | instskip(NEXT) | instid1(VALU_DEP_1)
	v_or_b32_e32 v13, s11, v7
	v_cmpx_ne_u64_e32 0, v[12:13]
	s_xor_b32 s3, exec_lo, s2
	s_cbranch_execz .LBB5_11
; %bb.10:
	s_ashr_i32 s8, s11, 31
	s_mov_b32 s25, 0
	s_mov_b32 s9, s8
	v_dual_mov_b32 v17, v12 :: v_dual_ashrrev_i32 v10, 31, v7
	s_add_nc_u64 s[12:13], s[10:11], s[8:9]
	v_mov_b32_e32 v19, v12
	s_xor_b64 s[12:13], s[12:13], s[8:9]
	s_delay_alu instid0(VALU_DEP_2)
	v_mov_b32_e32 v11, v10
	s_cvt_f32_u32 s2, s12
	s_cvt_f32_u32 s9, s13
	s_sub_nc_u64 s[20:21], 0, s[12:13]
	v_mov_b32_e32 v25, v12
	v_add_nc_u64_e32 v[14:15], v[6:7], v[10:11]
	s_fmamk_f32 s2, s9, 0x4f800000, s2
	v_mov_b32_e32 v13, v12
	s_delay_alu instid0(SALU_CYCLE_2) | instskip(NEXT) | instid1(VALU_DEP_2)
	v_s_rcp_f32 s2, s2
	v_xor_b32_e32 v16, v14, v10
	s_delay_alu instid0(VALU_DEP_3) | instskip(SKIP_1) | instid1(TRANS32_DEP_1)
	v_xor_b32_e32 v18, v15, v10
	v_xor_b32_e32 v10, s8, v10
	s_mul_f32 s2, s2, 0x5f7ffffc
	s_delay_alu instid0(SALU_CYCLE_3) | instskip(NEXT) | instid1(SALU_CYCLE_3)
	s_mul_f32 s9, s2, 0x2f800000
	s_trunc_f32 s9, s9
	s_delay_alu instid0(SALU_CYCLE_3) | instskip(SKIP_1) | instid1(SALU_CYCLE_2)
	s_fmamk_f32 s2, s9, 0xcf800000, s2
	s_cvt_u32_f32 s15, s9
	s_cvt_u32_f32 s14, s2
	s_delay_alu instid0(SALU_CYCLE_3) | instskip(NEXT) | instid1(SALU_CYCLE_1)
	s_mul_u64 s[22:23], s[20:21], s[14:15]
	s_mul_hi_u32 s27, s14, s23
	s_mul_i32 s26, s14, s23
	s_mul_hi_u32 s24, s14, s22
	s_mul_i32 s9, s15, s22
	s_add_nc_u64 s[26:27], s[24:25], s[26:27]
	s_mul_hi_u32 s2, s15, s22
	s_mul_hi_u32 s28, s15, s23
	s_add_co_u32 s9, s26, s9
	s_add_co_ci_u32 s24, s27, s2
	s_mul_i32 s22, s15, s23
	s_add_co_ci_u32 s23, s28, 0
	s_delay_alu instid0(SALU_CYCLE_1) | instskip(NEXT) | instid1(SALU_CYCLE_1)
	s_add_nc_u64 s[22:23], s[24:25], s[22:23]
	s_add_co_u32 s14, s14, s22
	s_cselect_b32 s2, -1, 0
	s_delay_alu instid0(SALU_CYCLE_1) | instskip(SKIP_1) | instid1(SALU_CYCLE_1)
	s_cmp_lg_u32 s2, 0
	s_add_co_ci_u32 s15, s15, s23
	s_mul_u64 s[20:21], s[20:21], s[14:15]
	s_delay_alu instid0(SALU_CYCLE_1)
	s_mul_hi_u32 s23, s14, s21
	s_mul_i32 s22, s14, s21
	s_mul_hi_u32 s24, s14, s20
	s_mul_i32 s9, s15, s20
	s_add_nc_u64 s[22:23], s[24:25], s[22:23]
	s_mul_hi_u32 s2, s15, s20
	s_mul_hi_u32 s26, s15, s21
	s_add_co_u32 s9, s22, s9
	s_add_co_ci_u32 s24, s23, s2
	s_mul_i32 s20, s15, s21
	s_add_co_ci_u32 s21, s26, 0
	s_delay_alu instid0(SALU_CYCLE_1) | instskip(NEXT) | instid1(SALU_CYCLE_1)
	s_add_nc_u64 s[20:21], s[24:25], s[20:21]
	s_add_co_u32 s2, s14, s20
	s_cselect_b32 s9, -1, 0
	v_mul_hi_u32 v24, v16, s2
	s_cmp_lg_u32 s9, 0
	s_add_co_ci_u32 s24, s15, s21
	s_mov_b64 s[14:15], 0xffffffff
	v_mul_u64_e32 v[20:21], s[24:25], v[16:17]
	s_and_b64 s[14:15], s[2:3], s[14:15]
	v_mul_u64_e32 v[22:23], s[24:25], v[18:19]
	v_mul_u64_e32 v[14:15], s[14:15], v[18:19]
	s_delay_alu instid0(VALU_DEP_3) | instskip(NEXT) | instid1(VALU_DEP_1)
	v_add_nc_u64_e32 v[20:21], v[24:25], v[20:21]
	v_add_co_u32 v9, vcc_lo, v20, v14
	s_delay_alu instid0(VALU_DEP_2) | instskip(SKIP_1) | instid1(VALU_DEP_1)
	v_add_co_ci_u32_e32 v12, vcc_lo, v21, v15, vcc_lo
	v_add_co_ci_u32_e32 v23, vcc_lo, 0, v23, vcc_lo
	v_add_nc_u64_e32 v[12:13], v[12:13], v[22:23]
	s_delay_alu instid0(VALU_DEP_1) | instskip(NEXT) | instid1(VALU_DEP_1)
	v_mul_u64_e32 v[14:15], s[12:13], v[12:13]
	v_sub_co_u32 v11, vcc_lo, v16, v14
	v_add_nc_u64_e32 v[16:17], 1, v[12:13]
	s_delay_alu instid0(VALU_DEP_3) | instskip(SKIP_1) | instid1(VALU_DEP_4)
	v_sub_nc_u32_e32 v9, v18, v15
	v_sub_co_ci_u32_e64 v18, null, v18, v15, vcc_lo
	v_sub_co_u32 v14, s2, v11, s12
	s_delay_alu instid0(VALU_DEP_3) | instskip(NEXT) | instid1(VALU_DEP_2)
	v_subrev_co_ci_u32_e64 v9, null, s13, v9, vcc_lo
	v_cmp_le_u32_e32 vcc_lo, s12, v14
	s_delay_alu instid0(VALU_DEP_2) | instskip(SKIP_1) | instid1(VALU_DEP_2)
	v_subrev_co_ci_u32_e64 v9, null, 0, v9, s2
	v_cndmask_b32_e64 v14, 0, -1, vcc_lo
	v_cmp_le_u32_e32 vcc_lo, s13, v9
	v_cndmask_b32_e64 v15, 0, -1, vcc_lo
	v_cmp_le_u32_e32 vcc_lo, s12, v11
	;; [unrolled: 2-line block ×3, first 2 shown]
	v_cndmask_b32_e64 v19, 0, -1, vcc_lo
	v_cmp_eq_u32_e32 vcc_lo, s13, v9
	v_cndmask_b32_e32 v9, v15, v14, vcc_lo
	v_cmp_eq_u32_e32 vcc_lo, s13, v18
	v_add_nc_u64_e32 v[14:15], 2, v[12:13]
	v_cndmask_b32_e32 v11, v19, v11, vcc_lo
	s_delay_alu instid0(VALU_DEP_4) | instskip(NEXT) | instid1(VALU_DEP_2)
	v_cmp_ne_u32_e32 vcc_lo, 0, v9
	v_cmp_ne_u32_e64 s2, 0, v11
	s_delay_alu instid0(VALU_DEP_4) | instskip(NEXT) | instid1(VALU_DEP_1)
	v_dual_cndmask_b32 v9, v17, v15, vcc_lo :: v_dual_cndmask_b32 v11, v16, v14, vcc_lo
	v_dual_cndmask_b32 v12, v12, v11, s2 :: v_dual_mov_b32 v11, v10
	s_delay_alu instid0(VALU_DEP_1) | instskip(NEXT) | instid1(VALU_DEP_1)
	v_dual_cndmask_b32 v9, v13, v9, s2 :: v_dual_bitop2_b32 v12, v12, v10 bitop3:0x14
	v_xor_b32_e32 v13, v9, v10
	s_delay_alu instid0(VALU_DEP_1)
	v_sub_nc_u64_e32 v[10:11], v[12:13], v[10:11]
.LBB5_11:
	s_and_not1_saveexec_b32 s2, s3
	s_cbranch_execz .LBB5_13
; %bb.12:
	v_cvt_f32_u32_e32 v9, s10
	s_sub_co_i32 s3, 0, s10
	s_delay_alu instid0(VALU_DEP_1) | instskip(SKIP_1) | instid1(TRANS32_DEP_1)
	v_rcp_iflag_f32_e32 v9, v9
	v_nop
	v_mul_f32_e32 v9, 0x4f7ffffe, v9
	s_delay_alu instid0(VALU_DEP_1) | instskip(NEXT) | instid1(VALU_DEP_1)
	v_cvt_u32_f32_e32 v9, v9
	v_mul_lo_u32 v10, s3, v9
	s_delay_alu instid0(VALU_DEP_1) | instskip(NEXT) | instid1(VALU_DEP_1)
	v_mul_hi_u32 v10, v9, v10
	v_add_nc_u32_e32 v9, v9, v10
	s_delay_alu instid0(VALU_DEP_1) | instskip(NEXT) | instid1(VALU_DEP_1)
	v_mul_hi_u32 v9, v6, v9
	v_mul_lo_u32 v10, v9, s10
	s_delay_alu instid0(VALU_DEP_1) | instskip(NEXT) | instid1(VALU_DEP_1)
	v_dual_add_nc_u32 v11, 1, v9 :: v_dual_sub_nc_u32 v10, v6, v10
	v_subrev_nc_u32_e32 v12, s10, v10
	v_cmp_le_u32_e32 vcc_lo, s10, v10
	s_delay_alu instid0(VALU_DEP_2) | instskip(NEXT) | instid1(VALU_DEP_1)
	v_dual_cndmask_b32 v10, v10, v12 :: v_dual_cndmask_b32 v9, v9, v11
	v_cmp_le_u32_e32 vcc_lo, s10, v10
	s_delay_alu instid0(VALU_DEP_2) | instskip(NEXT) | instid1(VALU_DEP_1)
	v_add_nc_u32_e32 v11, 1, v9
	v_dual_cndmask_b32 v10, v9, v11 :: v_dual_mov_b32 v11, 0
.LBB5_13:
	s_or_b32 exec_lo, exec_lo, s2
	s_load_b512 s[36:51], s[0:1], 0x40
                                        ; implicit-def: $vgpr12_vgpr13
	s_mov_b32 s2, exec_lo
	v_mov_b32_e32 v14, 0
	s_wait_kmcnt 0x0
	s_mul_u64 s[8:9], s[42:43], s[40:41]
	s_delay_alu instid0(SALU_CYCLE_1) | instskip(NEXT) | instid1(SALU_CYCLE_1)
	s_mul_u64 s[12:13], s[8:9], s[44:45]
	v_or_b32_e32 v15, s13, v5
	s_delay_alu instid0(VALU_DEP_1)
	v_cmpx_ne_u64_e32 0, v[14:15]
	s_xor_b32 s3, exec_lo, s2
	s_cbranch_execz .LBB5_15
; %bb.14:
	s_ashr_i32 s14, s13, 31
	s_mov_b32 s29, 0
	s_mov_b32 s15, s14
	v_dual_mov_b32 v9, v8 :: v_dual_mov_b32 v17, v14
	s_add_nc_u64 s[20:21], s[12:13], s[14:15]
	v_mov_b32_e32 v15, v14
	s_xor_b64 s[20:21], s[20:21], s[14:15]
	s_delay_alu instid0(VALU_DEP_2) | instskip(SKIP_4) | instid1(SALU_CYCLE_1)
	v_add_nc_u64_e32 v[12:13], v[4:5], v[8:9]
	s_cvt_f32_u32 s2, s20
	s_cvt_f32_u32 s15, s21
	s_sub_nc_u64 s[24:25], 0, s[20:21]
	v_dual_mov_b32 v19, v14 :: v_dual_mov_b32 v25, v14
	s_fmamk_f32 s2, s15, 0x4f800000, s2
	s_delay_alu instid0(VALU_DEP_2) | instskip(SKIP_3) | instid1(TRANS32_DEP_1)
	v_xor_b32_e32 v16, v12, v8
	v_xor_b32_e32 v18, v13, v8
	;; [unrolled: 1-line block ×3, first 2 shown]
	v_s_rcp_f32 s2, s2
	s_mul_f32 s2, s2, 0x5f7ffffc
	s_delay_alu instid0(SALU_CYCLE_3) | instskip(NEXT) | instid1(SALU_CYCLE_3)
	s_mul_f32 s15, s2, 0x2f800000
	s_trunc_f32 s15, s15
	s_delay_alu instid0(SALU_CYCLE_3) | instskip(SKIP_1) | instid1(SALU_CYCLE_2)
	s_fmamk_f32 s2, s15, 0xcf800000, s2
	s_cvt_u32_f32 s23, s15
	s_cvt_u32_f32 s22, s2
	s_delay_alu instid0(SALU_CYCLE_3) | instskip(NEXT) | instid1(SALU_CYCLE_1)
	s_mul_u64 s[26:27], s[24:25], s[22:23]
	s_mul_hi_u32 s31, s22, s27
	s_mul_i32 s30, s22, s27
	s_mul_hi_u32 s28, s22, s26
	s_mul_i32 s15, s23, s26
	s_add_nc_u64 s[30:31], s[28:29], s[30:31]
	s_mul_hi_u32 s2, s23, s26
	s_mul_hi_u32 s33, s23, s27
	s_add_co_u32 s15, s30, s15
	s_add_co_ci_u32 s28, s31, s2
	s_mul_i32 s26, s23, s27
	s_add_co_ci_u32 s27, s33, 0
	s_delay_alu instid0(SALU_CYCLE_1) | instskip(NEXT) | instid1(SALU_CYCLE_1)
	s_add_nc_u64 s[26:27], s[28:29], s[26:27]
	s_add_co_u32 s22, s22, s26
	s_cselect_b32 s2, -1, 0
	s_delay_alu instid0(SALU_CYCLE_1) | instskip(SKIP_1) | instid1(SALU_CYCLE_1)
	s_cmp_lg_u32 s2, 0
	s_add_co_ci_u32 s23, s23, s27
	s_mul_u64 s[24:25], s[24:25], s[22:23]
	s_delay_alu instid0(SALU_CYCLE_1)
	s_mul_hi_u32 s27, s22, s25
	s_mul_i32 s26, s22, s25
	s_mul_hi_u32 s28, s22, s24
	s_mul_i32 s15, s23, s24
	s_add_nc_u64 s[26:27], s[28:29], s[26:27]
	s_mul_hi_u32 s2, s23, s24
	s_mul_hi_u32 s30, s23, s25
	s_add_co_u32 s15, s26, s15
	s_add_co_ci_u32 s28, s27, s2
	s_mul_i32 s24, s23, s25
	s_add_co_ci_u32 s25, s30, 0
	s_delay_alu instid0(SALU_CYCLE_1) | instskip(NEXT) | instid1(SALU_CYCLE_1)
	s_add_nc_u64 s[24:25], s[28:29], s[24:25]
	s_add_co_u32 s2, s22, s24
	s_cselect_b32 s15, -1, 0
	v_nop
	v_mul_hi_u32 v24, v16, s2
	s_cmp_lg_u32 s15, 0
	s_add_co_ci_u32 s28, s23, s25
	s_mov_b64 s[22:23], 0xffffffff
	v_mul_u64_e32 v[20:21], s[28:29], v[16:17]
	s_and_b64 s[22:23], s[2:3], s[22:23]
	v_mul_u64_e32 v[22:23], s[28:29], v[18:19]
	v_mul_u64_e32 v[12:13], s[22:23], v[18:19]
	s_delay_alu instid0(VALU_DEP_3) | instskip(NEXT) | instid1(VALU_DEP_1)
	v_add_nc_u64_e32 v[20:21], v[24:25], v[20:21]
	v_add_co_u32 v9, vcc_lo, v20, v12
	s_delay_alu instid0(VALU_DEP_2) | instskip(SKIP_1) | instid1(VALU_DEP_1)
	v_add_co_ci_u32_e32 v14, vcc_lo, v21, v13, vcc_lo
	v_add_co_ci_u32_e32 v23, vcc_lo, 0, v23, vcc_lo
	v_add_nc_u64_e32 v[12:13], v[14:15], v[22:23]
	s_delay_alu instid0(VALU_DEP_1) | instskip(NEXT) | instid1(VALU_DEP_1)
	v_mul_u64_e32 v[14:15], s[20:21], v[12:13]
	v_sub_nc_u32_e32 v9, v18, v15
	s_delay_alu instid0(VALU_DEP_2) | instskip(NEXT) | instid1(VALU_DEP_1)
	v_sub_co_u32 v14, vcc_lo, v16, v14
	v_sub_co_ci_u32_e64 v18, null, v18, v15, vcc_lo
	s_delay_alu instid0(VALU_DEP_3) | instskip(NEXT) | instid1(VALU_DEP_3)
	v_subrev_co_ci_u32_e64 v9, null, s21, v9, vcc_lo
	v_sub_co_u32 v16, s2, v14, s20
	s_delay_alu instid0(VALU_DEP_1) | instskip(NEXT) | instid1(VALU_DEP_2)
	v_subrev_co_ci_u32_e64 v9, null, 0, v9, s2
	v_cmp_le_u32_e32 vcc_lo, s20, v16
	v_cndmask_b32_e64 v15, 0, -1, vcc_lo
	s_delay_alu instid0(VALU_DEP_3)
	v_cmp_le_u32_e32 vcc_lo, s21, v9
	v_cndmask_b32_e64 v16, 0, -1, vcc_lo
	v_cmp_le_u32_e32 vcc_lo, s20, v14
	v_cndmask_b32_e64 v19, 0, -1, vcc_lo
	v_cmp_le_u32_e32 vcc_lo, s21, v18
	v_cndmask_b32_e64 v20, 0, -1, vcc_lo
	v_cmp_eq_u32_e32 vcc_lo, s21, v9
	v_cndmask_b32_e32 v9, v16, v15, vcc_lo
	v_cmp_eq_u32_e32 vcc_lo, s21, v18
	v_add_nc_u64_e32 v[14:15], 2, v[12:13]
	v_add_nc_u64_e32 v[16:17], 1, v[12:13]
	v_cndmask_b32_e32 v18, v20, v19, vcc_lo
	v_cmp_ne_u32_e32 vcc_lo, 0, v9
	s_delay_alu instid0(VALU_DEP_2) | instskip(NEXT) | instid1(VALU_DEP_4)
	v_cmp_ne_u32_e64 s2, 0, v18
	v_dual_cndmask_b32 v14, v16, v14 :: v_dual_cndmask_b32 v9, v17, v15
	s_delay_alu instid0(VALU_DEP_1) | instskip(SKIP_1) | instid1(VALU_DEP_2)
	v_dual_cndmask_b32 v12, v12, v14, s2 :: v_dual_cndmask_b32 v13, v13, v9, s2
	v_mov_b32_e32 v9, v8
	v_xor_b32_e32 v12, v12, v8
	s_delay_alu instid0(VALU_DEP_3) | instskip(NEXT) | instid1(VALU_DEP_1)
	v_xor_b32_e32 v13, v13, v8
	v_sub_nc_u64_e32 v[12:13], v[12:13], v[8:9]
.LBB5_15:
	s_and_not1_saveexec_b32 s2, s3
	s_cbranch_execz .LBB5_17
; %bb.16:
	v_cvt_f32_u32_e32 v8, s12
	s_sub_co_i32 s3, 0, s12
	s_delay_alu instid0(VALU_DEP_1) | instskip(SKIP_1) | instid1(TRANS32_DEP_1)
	v_rcp_iflag_f32_e32 v8, v8
	v_nop
	v_mul_f32_e32 v8, 0x4f7ffffe, v8
	s_delay_alu instid0(VALU_DEP_1) | instskip(NEXT) | instid1(VALU_DEP_1)
	v_cvt_u32_f32_e32 v8, v8
	v_mul_lo_u32 v9, s3, v8
	s_delay_alu instid0(VALU_DEP_1) | instskip(NEXT) | instid1(VALU_DEP_1)
	v_mul_hi_u32 v9, v8, v9
	v_add_nc_u32_e32 v8, v8, v9
	s_delay_alu instid0(VALU_DEP_1) | instskip(NEXT) | instid1(VALU_DEP_1)
	v_mul_hi_u32 v8, v4, v8
	v_mul_lo_u32 v9, v8, s12
	s_delay_alu instid0(VALU_DEP_1) | instskip(NEXT) | instid1(VALU_DEP_1)
	v_sub_nc_u32_e32 v9, v4, v9
	v_subrev_nc_u32_e32 v13, s12, v9
	v_cmp_le_u32_e32 vcc_lo, s12, v9
	s_delay_alu instid0(VALU_DEP_2) | instskip(NEXT) | instid1(VALU_DEP_1)
	v_dual_cndmask_b32 v9, v9, v13 :: v_dual_add_nc_u32 v12, 1, v8
	v_dual_cndmask_b32 v8, v8, v12 :: v_dual_mov_b32 v13, 0
	s_delay_alu instid0(VALU_DEP_2) | instskip(NEXT) | instid1(VALU_DEP_2)
	v_cmp_le_u32_e32 vcc_lo, s12, v9
	v_add_nc_u32_e32 v12, 1, v8
	s_delay_alu instid0(VALU_DEP_1)
	v_cndmask_b32_e32 v12, v8, v12, vcc_lo
.LBB5_17:
	s_or_b32 exec_lo, exec_lo, s2
	s_delay_alu instid0(VALU_DEP_1) | instskip(SKIP_2) | instid1(VALU_DEP_2)
	v_mul_u64_e32 v[8:9], s[12:13], v[12:13]
	s_mov_b32 s2, exec_lo
	v_mov_b32_e32 v14, 0
	v_sub_nc_u64_e32 v[8:9], v[4:5], v[8:9]
                                        ; implicit-def: $vgpr4_vgpr5
	s_delay_alu instid0(VALU_DEP_1) | instskip(NEXT) | instid1(VALU_DEP_1)
	v_or_b32_e32 v15, s9, v9
	v_cmpx_ne_u64_e32 0, v[14:15]
	s_xor_b32 s3, exec_lo, s2
	s_cbranch_execz .LBB5_19
; %bb.18:
	s_ashr_i32 s12, s9, 31
	s_mov_b32 s27, 0
	s_mov_b32 s13, s12
	v_dual_mov_b32 v19, v14 :: v_dual_ashrrev_i32 v4, 31, v9
	s_add_nc_u64 s[14:15], s[8:9], s[12:13]
	v_mov_b32_e32 v21, v14
	s_xor_b64 s[14:15], s[14:15], s[12:13]
	s_delay_alu instid0(VALU_DEP_2)
	v_mov_b32_e32 v5, v4
	s_cvt_f32_u32 s2, s14
	s_cvt_f32_u32 s13, s15
	s_sub_nc_u64 s[22:23], 0, s[14:15]
	v_mov_b32_e32 v27, v14
	v_add_nc_u64_e32 v[16:17], v[8:9], v[4:5]
	s_fmamk_f32 s2, s13, 0x4f800000, s2
	v_mov_b32_e32 v15, v14
	s_delay_alu instid0(SALU_CYCLE_2) | instskip(NEXT) | instid1(VALU_DEP_2)
	v_s_rcp_f32 s2, s2
	v_xor_b32_e32 v18, v16, v4
	s_delay_alu instid0(VALU_DEP_3) | instskip(SKIP_1) | instid1(TRANS32_DEP_1)
	v_xor_b32_e32 v20, v17, v4
	v_xor_b32_e32 v4, s12, v4
	s_mul_f32 s2, s2, 0x5f7ffffc
	s_delay_alu instid0(SALU_CYCLE_3) | instskip(NEXT) | instid1(SALU_CYCLE_3)
	s_mul_f32 s13, s2, 0x2f800000
	s_trunc_f32 s13, s13
	s_delay_alu instid0(SALU_CYCLE_3) | instskip(SKIP_1) | instid1(SALU_CYCLE_2)
	s_fmamk_f32 s2, s13, 0xcf800000, s2
	s_cvt_u32_f32 s21, s13
	s_cvt_u32_f32 s20, s2
	s_delay_alu instid0(SALU_CYCLE_3) | instskip(NEXT) | instid1(SALU_CYCLE_1)
	s_mul_u64 s[24:25], s[22:23], s[20:21]
	s_mul_hi_u32 s29, s20, s25
	s_mul_i32 s28, s20, s25
	s_mul_hi_u32 s26, s20, s24
	s_mul_i32 s13, s21, s24
	s_add_nc_u64 s[28:29], s[26:27], s[28:29]
	s_mul_hi_u32 s2, s21, s24
	s_mul_hi_u32 s30, s21, s25
	s_add_co_u32 s13, s28, s13
	s_add_co_ci_u32 s26, s29, s2
	s_mul_i32 s24, s21, s25
	s_add_co_ci_u32 s25, s30, 0
	s_delay_alu instid0(SALU_CYCLE_1) | instskip(NEXT) | instid1(SALU_CYCLE_1)
	s_add_nc_u64 s[24:25], s[26:27], s[24:25]
	s_add_co_u32 s20, s20, s24
	s_cselect_b32 s2, -1, 0
	s_delay_alu instid0(SALU_CYCLE_1) | instskip(SKIP_1) | instid1(SALU_CYCLE_1)
	s_cmp_lg_u32 s2, 0
	s_add_co_ci_u32 s21, s21, s25
	s_mul_u64 s[22:23], s[22:23], s[20:21]
	s_delay_alu instid0(SALU_CYCLE_1)
	s_mul_hi_u32 s25, s20, s23
	s_mul_i32 s24, s20, s23
	s_mul_hi_u32 s26, s20, s22
	s_mul_i32 s13, s21, s22
	s_add_nc_u64 s[24:25], s[26:27], s[24:25]
	s_mul_hi_u32 s2, s21, s22
	s_mul_hi_u32 s28, s21, s23
	s_add_co_u32 s13, s24, s13
	s_add_co_ci_u32 s26, s25, s2
	s_mul_i32 s22, s21, s23
	s_add_co_ci_u32 s23, s28, 0
	s_delay_alu instid0(SALU_CYCLE_1) | instskip(NEXT) | instid1(SALU_CYCLE_1)
	s_add_nc_u64 s[22:23], s[26:27], s[22:23]
	s_add_co_u32 s2, s20, s22
	s_cselect_b32 s13, -1, 0
	v_mul_hi_u32 v26, v18, s2
	s_cmp_lg_u32 s13, 0
	s_add_co_ci_u32 s26, s21, s23
	s_mov_b64 s[20:21], 0xffffffff
	v_mul_u64_e32 v[22:23], s[26:27], v[18:19]
	s_and_b64 s[20:21], s[2:3], s[20:21]
	v_mul_u64_e32 v[24:25], s[26:27], v[20:21]
	v_mul_u64_e32 v[16:17], s[20:21], v[20:21]
	s_delay_alu instid0(VALU_DEP_3) | instskip(NEXT) | instid1(VALU_DEP_1)
	v_add_nc_u64_e32 v[22:23], v[26:27], v[22:23]
	v_add_co_u32 v5, vcc_lo, v22, v16
	s_delay_alu instid0(VALU_DEP_2) | instskip(SKIP_1) | instid1(VALU_DEP_1)
	v_add_co_ci_u32_e32 v14, vcc_lo, v23, v17, vcc_lo
	v_add_co_ci_u32_e32 v25, vcc_lo, 0, v25, vcc_lo
	v_add_nc_u64_e32 v[14:15], v[14:15], v[24:25]
	s_delay_alu instid0(VALU_DEP_1) | instskip(NEXT) | instid1(VALU_DEP_1)
	v_mul_u64_e32 v[16:17], s[14:15], v[14:15]
	v_sub_nc_u32_e32 v5, v20, v17
	s_delay_alu instid0(VALU_DEP_2) | instskip(NEXT) | instid1(VALU_DEP_1)
	v_sub_co_u32 v16, vcc_lo, v18, v16
	v_sub_co_ci_u32_e64 v20, null, v20, v17, vcc_lo
	s_delay_alu instid0(VALU_DEP_3) | instskip(NEXT) | instid1(VALU_DEP_3)
	v_subrev_co_ci_u32_e64 v5, null, s15, v5, vcc_lo
	v_sub_co_u32 v18, s2, v16, s14
	s_delay_alu instid0(VALU_DEP_1) | instskip(NEXT) | instid1(VALU_DEP_2)
	v_subrev_co_ci_u32_e64 v5, null, 0, v5, s2
	v_cmp_le_u32_e32 vcc_lo, s14, v18
	v_cndmask_b32_e64 v17, 0, -1, vcc_lo
	s_delay_alu instid0(VALU_DEP_3)
	v_cmp_le_u32_e32 vcc_lo, s15, v5
	v_cndmask_b32_e64 v18, 0, -1, vcc_lo
	v_cmp_le_u32_e32 vcc_lo, s14, v16
	v_cndmask_b32_e64 v21, 0, -1, vcc_lo
	v_cmp_le_u32_e32 vcc_lo, s15, v20
	v_cndmask_b32_e64 v22, 0, -1, vcc_lo
	v_cmp_eq_u32_e32 vcc_lo, s15, v5
	v_cndmask_b32_e32 v5, v18, v17, vcc_lo
	v_cmp_eq_u32_e32 vcc_lo, s15, v20
	v_add_nc_u64_e32 v[16:17], 2, v[14:15]
	v_add_nc_u64_e32 v[18:19], 1, v[14:15]
	v_cndmask_b32_e32 v20, v22, v21, vcc_lo
	v_cmp_ne_u32_e32 vcc_lo, 0, v5
	s_delay_alu instid0(VALU_DEP_2) | instskip(NEXT) | instid1(VALU_DEP_4)
	v_cmp_ne_u32_e64 s2, 0, v20
	v_dual_cndmask_b32 v16, v18, v16 :: v_dual_cndmask_b32 v5, v19, v17
	s_delay_alu instid0(VALU_DEP_1) | instskip(NEXT) | instid1(VALU_DEP_1)
	v_dual_cndmask_b32 v14, v14, v16, s2 :: v_dual_cndmask_b32 v15, v15, v5, s2
	v_dual_mov_b32 v5, v4 :: v_dual_bitop2_b32 v14, v14, v4 bitop3:0x14
	s_delay_alu instid0(VALU_DEP_2) | instskip(NEXT) | instid1(VALU_DEP_1)
	v_xor_b32_e32 v15, v15, v4
	v_sub_nc_u64_e32 v[4:5], v[14:15], v[4:5]
.LBB5_19:
	s_and_not1_saveexec_b32 s2, s3
	s_cbranch_execz .LBB5_21
; %bb.20:
	v_cvt_f32_u32_e32 v4, s8
	s_sub_co_i32 s3, 0, s8
	s_delay_alu instid0(VALU_DEP_1) | instskip(SKIP_1) | instid1(TRANS32_DEP_1)
	v_rcp_iflag_f32_e32 v4, v4
	v_nop
	v_mul_f32_e32 v4, 0x4f7ffffe, v4
	s_delay_alu instid0(VALU_DEP_1) | instskip(NEXT) | instid1(VALU_DEP_1)
	v_cvt_u32_f32_e32 v4, v4
	v_mul_lo_u32 v5, s3, v4
	s_delay_alu instid0(VALU_DEP_1) | instskip(NEXT) | instid1(VALU_DEP_1)
	v_mul_hi_u32 v5, v4, v5
	v_add_nc_u32_e32 v4, v4, v5
	s_delay_alu instid0(VALU_DEP_1) | instskip(NEXT) | instid1(VALU_DEP_1)
	v_mul_hi_u32 v4, v8, v4
	v_mul_lo_u32 v5, v4, s8
	s_delay_alu instid0(VALU_DEP_1) | instskip(NEXT) | instid1(VALU_DEP_1)
	v_dual_add_nc_u32 v14, 1, v4 :: v_dual_sub_nc_u32 v5, v8, v5
	v_subrev_nc_u32_e32 v15, s8, v5
	v_cmp_le_u32_e32 vcc_lo, s8, v5
	s_delay_alu instid0(VALU_DEP_2) | instskip(NEXT) | instid1(VALU_DEP_1)
	v_dual_cndmask_b32 v5, v5, v15 :: v_dual_cndmask_b32 v4, v4, v14
	v_cmp_le_u32_e32 vcc_lo, s8, v5
	s_delay_alu instid0(VALU_DEP_2) | instskip(NEXT) | instid1(VALU_DEP_1)
	v_dual_mov_b32 v5, 0 :: v_dual_add_nc_u32 v14, 1, v4
	v_cndmask_b32_e32 v4, v4, v14, vcc_lo
.LBB5_21:
	s_or_b32 exec_lo, exec_lo, s2
	s_delay_alu instid0(VALU_DEP_1) | instskip(SKIP_1) | instid1(VALU_DEP_1)
	v_mul_u64_e32 v[14:15], s[8:9], v[4:5]
                                        ; implicit-def: $vgpr16_vgpr17
	s_mov_b32 s2, exec_lo
	v_sub_nc_u64_e32 v[8:9], v[8:9], v[14:15]
	s_delay_alu instid0(VALU_DEP_1) | instskip(NEXT) | instid1(VALU_DEP_1)
	v_dual_mov_b32 v14, 0 :: v_dual_bitop2_b32 v15, s41, v9 bitop3:0x54
	v_cmpx_ne_u64_e32 0, v[14:15]
	s_xor_b32 s3, exec_lo, s2
	s_cbranch_execz .LBB5_23
; %bb.22:
	s_ashr_i32 s8, s41, 31
	s_mov_b32 s25, 0
	s_mov_b32 s9, s8
	v_dual_mov_b32 v21, v14 :: v_dual_ashrrev_i32 v16, 31, v9
	s_add_nc_u64 s[12:13], s[40:41], s[8:9]
	v_dual_mov_b32 v29, v14 :: v_dual_mov_b32 v15, v14
	s_xor_b64 s[12:13], s[12:13], s[8:9]
	s_delay_alu instid0(VALU_DEP_2) | instskip(SKIP_3) | instid1(VALU_DEP_1)
	v_mov_b32_e32 v17, v16
	s_cvt_f32_u32 s2, s12
	s_cvt_f32_u32 s9, s13
	s_sub_nc_u64 s[20:21], 0, s[12:13]
	v_add_nc_u64_e32 v[18:19], v[8:9], v[16:17]
	s_delay_alu instid0(SALU_CYCLE_1) | instskip(SKIP_1) | instid1(SALU_CYCLE_2)
	s_fmamk_f32 s2, s9, 0x4f800000, s2
	v_mov_b32_e32 v23, v14
	v_s_rcp_f32 s2, s2
	s_delay_alu instid0(VALU_DEP_2) | instskip(NEXT) | instid1(VALU_DEP_3)
	v_xor_b32_e32 v20, v18, v16
	v_xor_b32_e32 v22, v19, v16
	;; [unrolled: 1-line block ×3, first 2 shown]
	s_delay_alu instid0(TRANS32_DEP_1) | instskip(NEXT) | instid1(SALU_CYCLE_3)
	s_mul_f32 s2, s2, 0x5f7ffffc
	s_mul_f32 s9, s2, 0x2f800000
	s_delay_alu instid0(SALU_CYCLE_3) | instskip(NEXT) | instid1(SALU_CYCLE_3)
	s_trunc_f32 s9, s9
	s_fmamk_f32 s2, s9, 0xcf800000, s2
	s_cvt_u32_f32 s15, s9
	s_delay_alu instid0(SALU_CYCLE_2) | instskip(NEXT) | instid1(SALU_CYCLE_3)
	s_cvt_u32_f32 s14, s2
	s_mul_u64 s[22:23], s[20:21], s[14:15]
	s_delay_alu instid0(SALU_CYCLE_1)
	s_mul_hi_u32 s27, s14, s23
	s_mul_i32 s26, s14, s23
	s_mul_hi_u32 s24, s14, s22
	s_mul_i32 s9, s15, s22
	s_add_nc_u64 s[26:27], s[24:25], s[26:27]
	s_mul_hi_u32 s2, s15, s22
	s_mul_hi_u32 s28, s15, s23
	s_add_co_u32 s9, s26, s9
	s_add_co_ci_u32 s24, s27, s2
	s_mul_i32 s22, s15, s23
	s_add_co_ci_u32 s23, s28, 0
	s_delay_alu instid0(SALU_CYCLE_1) | instskip(NEXT) | instid1(SALU_CYCLE_1)
	s_add_nc_u64 s[22:23], s[24:25], s[22:23]
	s_add_co_u32 s14, s14, s22
	s_cselect_b32 s2, -1, 0
	s_delay_alu instid0(SALU_CYCLE_1) | instskip(SKIP_1) | instid1(SALU_CYCLE_1)
	s_cmp_lg_u32 s2, 0
	s_add_co_ci_u32 s15, s15, s23
	s_mul_u64 s[20:21], s[20:21], s[14:15]
	s_delay_alu instid0(SALU_CYCLE_1)
	s_mul_hi_u32 s23, s14, s21
	s_mul_i32 s22, s14, s21
	s_mul_hi_u32 s24, s14, s20
	s_mul_i32 s9, s15, s20
	s_add_nc_u64 s[22:23], s[24:25], s[22:23]
	s_mul_hi_u32 s2, s15, s20
	s_mul_hi_u32 s26, s15, s21
	s_add_co_u32 s9, s22, s9
	s_add_co_ci_u32 s24, s23, s2
	s_mul_i32 s20, s15, s21
	s_add_co_ci_u32 s21, s26, 0
	s_delay_alu instid0(SALU_CYCLE_1) | instskip(NEXT) | instid1(SALU_CYCLE_1)
	s_add_nc_u64 s[20:21], s[24:25], s[20:21]
	s_add_co_u32 s2, s14, s20
	s_cselect_b32 s9, -1, 0
	v_mul_hi_u32 v28, v20, s2
	s_cmp_lg_u32 s9, 0
	s_add_co_ci_u32 s24, s15, s21
	s_mov_b64 s[14:15], 0xffffffff
	v_mul_u64_e32 v[24:25], s[24:25], v[20:21]
	s_and_b64 s[14:15], s[2:3], s[14:15]
	v_mul_u64_e32 v[26:27], s[24:25], v[22:23]
	v_mul_u64_e32 v[18:19], s[14:15], v[22:23]
	s_delay_alu instid0(VALU_DEP_3) | instskip(NEXT) | instid1(VALU_DEP_1)
	v_add_nc_u64_e32 v[24:25], v[28:29], v[24:25]
	v_add_co_u32 v14, vcc_lo, v24, v18
	s_delay_alu instid0(VALU_DEP_2) | instskip(SKIP_1) | instid1(VALU_DEP_1)
	v_add_co_ci_u32_e32 v14, vcc_lo, v25, v19, vcc_lo
	v_add_co_ci_u32_e32 v27, vcc_lo, 0, v27, vcc_lo
	v_add_nc_u64_e32 v[14:15], v[14:15], v[26:27]
	s_delay_alu instid0(VALU_DEP_1) | instskip(NEXT) | instid1(VALU_DEP_1)
	v_mul_u64_e32 v[18:19], s[12:13], v[14:15]
	v_sub_nc_u32_e32 v17, v22, v19
	s_delay_alu instid0(VALU_DEP_2) | instskip(NEXT) | instid1(VALU_DEP_1)
	v_sub_co_u32 v18, vcc_lo, v20, v18
	v_sub_co_ci_u32_e64 v22, null, v22, v19, vcc_lo
	s_delay_alu instid0(VALU_DEP_3) | instskip(NEXT) | instid1(VALU_DEP_3)
	v_subrev_co_ci_u32_e64 v17, null, s13, v17, vcc_lo
	v_sub_co_u32 v20, s2, v18, s12
	s_delay_alu instid0(VALU_DEP_1) | instskip(NEXT) | instid1(VALU_DEP_2)
	v_subrev_co_ci_u32_e64 v17, null, 0, v17, s2
	v_cmp_le_u32_e32 vcc_lo, s12, v20
	v_cndmask_b32_e64 v19, 0, -1, vcc_lo
	s_delay_alu instid0(VALU_DEP_3)
	v_cmp_le_u32_e32 vcc_lo, s13, v17
	v_cndmask_b32_e64 v20, 0, -1, vcc_lo
	v_cmp_le_u32_e32 vcc_lo, s12, v18
	v_cndmask_b32_e64 v23, 0, -1, vcc_lo
	;; [unrolled: 2-line block ×3, first 2 shown]
	v_cmp_eq_u32_e32 vcc_lo, s13, v17
	v_cndmask_b32_e32 v17, v20, v19, vcc_lo
	v_cmp_eq_u32_e32 vcc_lo, s13, v22
	v_add_nc_u64_e32 v[18:19], 2, v[14:15]
	v_add_nc_u64_e32 v[20:21], 1, v[14:15]
	v_cndmask_b32_e32 v22, v24, v23, vcc_lo
	v_cmp_ne_u32_e32 vcc_lo, 0, v17
	s_delay_alu instid0(VALU_DEP_2) | instskip(NEXT) | instid1(VALU_DEP_4)
	v_cmp_ne_u32_e64 s2, 0, v22
	v_dual_cndmask_b32 v18, v20, v18 :: v_dual_cndmask_b32 v17, v21, v19
	s_delay_alu instid0(VALU_DEP_1) | instskip(NEXT) | instid1(VALU_DEP_1)
	v_dual_cndmask_b32 v14, v14, v18, s2 :: v_dual_cndmask_b32 v15, v15, v17, s2
	v_dual_mov_b32 v17, v16 :: v_dual_bitop2_b32 v14, v14, v16 bitop3:0x14
	s_delay_alu instid0(VALU_DEP_2) | instskip(NEXT) | instid1(VALU_DEP_1)
	v_xor_b32_e32 v15, v15, v16
	v_sub_nc_u64_e32 v[16:17], v[14:15], v[16:17]
.LBB5_23:
	s_and_not1_saveexec_b32 s2, s3
	s_cbranch_execz .LBB5_25
; %bb.24:
	v_cvt_f32_u32_e32 v14, s40
	s_sub_co_i32 s3, 0, s40
	s_delay_alu instid0(VALU_DEP_1) | instskip(SKIP_1) | instid1(TRANS32_DEP_1)
	v_rcp_iflag_f32_e32 v14, v14
	v_nop
	v_mul_f32_e32 v14, 0x4f7ffffe, v14
	s_delay_alu instid0(VALU_DEP_1) | instskip(NEXT) | instid1(VALU_DEP_1)
	v_cvt_u32_f32_e32 v14, v14
	v_mul_lo_u32 v15, s3, v14
	s_delay_alu instid0(VALU_DEP_1) | instskip(NEXT) | instid1(VALU_DEP_1)
	v_mul_hi_u32 v15, v14, v15
	v_add_nc_u32_e32 v14, v14, v15
	s_delay_alu instid0(VALU_DEP_1) | instskip(NEXT) | instid1(VALU_DEP_1)
	v_mul_hi_u32 v14, v8, v14
	v_mul_lo_u32 v15, v14, s40
	s_delay_alu instid0(VALU_DEP_1) | instskip(NEXT) | instid1(VALU_DEP_1)
	v_dual_add_nc_u32 v16, 1, v14 :: v_dual_sub_nc_u32 v15, v8, v15
	v_subrev_nc_u32_e32 v17, s40, v15
	v_cmp_le_u32_e32 vcc_lo, s40, v15
	s_delay_alu instid0(VALU_DEP_2) | instskip(NEXT) | instid1(VALU_DEP_4)
	v_dual_cndmask_b32 v15, v15, v17, vcc_lo :: v_dual_mov_b32 v17, 0
	v_cndmask_b32_e32 v14, v14, v16, vcc_lo
	s_delay_alu instid0(VALU_DEP_2) | instskip(NEXT) | instid1(VALU_DEP_2)
	v_cmp_le_u32_e32 vcc_lo, s40, v15
	v_add_nc_u32_e32 v16, 1, v14
	s_delay_alu instid0(VALU_DEP_1)
	v_cndmask_b32_e32 v16, v14, v16, vcc_lo
.LBB5_25:
	s_or_b32 exec_lo, exec_lo, s2
	v_mul_u64_e32 v[14:15], s[10:11], v[10:11]
	s_load_b64 s[0:1], s[0:1], 0x80
	s_delay_alu instid0(VALU_DEP_1) | instskip(NEXT) | instid1(VALU_DEP_1)
	v_sub_nc_u64_e32 v[6:7], v[6:7], v[14:15]
	v_dual_mov_b32 v15, 0 :: v_dual_ashrrev_i32 v14, 31, v7
	s_delay_alu instid0(VALU_DEP_1) | instskip(NEXT) | instid1(VALU_DEP_1)
	v_lshrrev_b32_e32 v14, 27, v14
	v_add_nc_u64_e32 v[6:7], v[6:7], v[14:15]
	s_delay_alu instid0(VALU_DEP_1) | instskip(NEXT) | instid1(VALU_DEP_1)
	v_ashrrev_i64 v[6:7], 5, v[6:7]
	v_mad_nc_u64_u32 v[14:15], v6, s16, s[4:5]
	s_delay_alu instid0(VALU_DEP_1) | instskip(NEXT) | instid1(VALU_DEP_1)
	v_mad_u32 v7, v7, s16, v15
	v_mad_u32 v15, v6, s17, v7
	s_delay_alu instid0(VALU_DEP_1) | instskip(NEXT) | instid1(VALU_DEP_1)
	v_mad_nc_u64_u32 v[6:7], v10, s18, v[14:15]
	v_mad_u32 v7, v11, s18, v7
	s_delay_alu instid0(VALU_DEP_1) | instskip(NEXT) | instid1(VALU_DEP_1)
	v_mad_u32 v7, v10, s19, v7
	v_mad_nc_u64_u32 v[6:7], v2, s36, v[6:7]
	s_delay_alu instid0(VALU_DEP_1) | instskip(NEXT) | instid1(VALU_DEP_1)
	v_mad_u32 v3, v3, s36, v7
	v_mad_u32 v7, v2, s37, v3
	s_delay_alu instid0(VALU_DEP_1) | instskip(NEXT) | instid1(VALU_DEP_1)
	v_mad_nc_u64_u32 v[2:3], v0, s38, v[6:7]
	v_mad_u32 v1, v1, s38, v3
	s_delay_alu instid0(VALU_DEP_1)
	v_mad_u32 v3, v0, s39, v1
	v_mul_u64_e32 v[0:1], s[40:41], v[16:17]
	s_clause 0x1
	global_load_u8 v10, v[2:3], off offset:4
	global_load_b32 v11, v[2:3], off
	v_sub_nc_u64_e32 v[0:1], v[8:9], v[0:1]
	s_delay_alu instid0(VALU_DEP_1) | instskip(NEXT) | instid1(VALU_DEP_1)
	v_mad_nc_u64_u32 v[6:7], v0, s46, s[6:7]
	v_mad_u32 v1, v1, s46, v7
	s_delay_alu instid0(VALU_DEP_1) | instskip(NEXT) | instid1(VALU_DEP_1)
	v_mad_u32 v7, v0, s47, v1
	v_mad_nc_u64_u32 v[0:1], v16, s48, v[6:7]
	s_delay_alu instid0(VALU_DEP_1) | instskip(NEXT) | instid1(VALU_DEP_1)
	v_mad_u32 v1, v17, s48, v1
	v_mad_u32 v1, v16, s49, v1
	s_delay_alu instid0(VALU_DEP_1) | instskip(NEXT) | instid1(VALU_DEP_1)
	v_mad_nc_u64_u32 v[0:1], v4, s50, v[0:1]
	v_mad_u32 v1, v5, s50, v1
	s_delay_alu instid0(VALU_DEP_1) | instskip(SKIP_1) | instid1(VALU_DEP_1)
	v_mad_u32 v1, v4, s51, v1
	s_wait_kmcnt 0x0
	v_mad_nc_u64_u32 v[0:1], v12, s0, v[0:1]
	s_delay_alu instid0(VALU_DEP_1) | instskip(NEXT) | instid1(VALU_DEP_1)
	v_mad_u32 v1, v13, s0, v1
	v_mad_u32 v1, v12, s1, v1
	s_wait_loadcnt 0x1
	v_dual_lshrrev_b32 v5, 4, v10 :: v_dual_bitop2_b32 v4, 15, v10 bitop3:0x40
	s_delay_alu instid0(VALU_DEP_1) | instskip(NEXT) | instid1(VALU_DEP_2)
	v_cvt_f32_ubyte0_e32 v4, v4
	v_cvt_f32_ubyte0_e32 v5, v5
	s_wait_loadcnt 0x0
	s_delay_alu instid0(VALU_DEP_2) | instskip(NEXT) | instid1(VALU_DEP_2)
	v_fma_mix_f32 v4, v11, v4, v11 op_sel:[0,0,1] op_sel_hi:[1,0,1]
	v_fma_mix_f32 v5, v11, v5, v11 op_sel:[0,0,1] op_sel_hi:[1,0,1]
	s_clause 0x1
	global_store_b32 v[0:1], v4, off
	global_store_b32 v[0:1], v5, off offset:64
	s_clause 0x1
	global_load_u8 v4, v[2:3], off offset:5
	global_load_b32 v5, v[2:3], off
	s_wait_loadcnt 0x1
	v_dual_lshrrev_b32 v4, 4, v4 :: v_dual_bitop2_b32 v6, 15, v4 bitop3:0x40
	s_delay_alu instid0(VALU_DEP_1) | instskip(NEXT) | instid1(VALU_DEP_2)
	v_cvt_f32_ubyte0_e32 v6, v6
	v_cvt_f32_ubyte0_e32 v4, v4
	s_wait_loadcnt 0x0
	s_delay_alu instid0(VALU_DEP_2) | instskip(NEXT) | instid1(VALU_DEP_2)
	v_fma_mix_f32 v6, v5, v6, v5 op_sel:[0,0,1] op_sel_hi:[1,0,1]
	v_fma_mix_f32 v4, v5, v4, v5 op_sel:[0,0,1] op_sel_hi:[1,0,1]
	s_clause 0x1
	global_store_b32 v[0:1], v6, off offset:4
	global_store_b32 v[0:1], v4, off offset:68
	s_clause 0x1
	global_load_u8 v4, v[2:3], off offset:6
	global_load_b32 v5, v[2:3], off
	s_wait_loadcnt 0x1
	v_dual_lshrrev_b32 v4, 4, v4 :: v_dual_bitop2_b32 v6, 15, v4 bitop3:0x40
	s_delay_alu instid0(VALU_DEP_1) | instskip(NEXT) | instid1(VALU_DEP_2)
	v_cvt_f32_ubyte0_e32 v6, v6
	v_cvt_f32_ubyte0_e32 v4, v4
	s_wait_loadcnt 0x0
	s_delay_alu instid0(VALU_DEP_2) | instskip(NEXT) | instid1(VALU_DEP_2)
	v_fma_mix_f32 v6, v5, v6, v5 op_sel:[0,0,1] op_sel_hi:[1,0,1]
	v_fma_mix_f32 v4, v5, v4, v5 op_sel:[0,0,1] op_sel_hi:[1,0,1]
	s_clause 0x1
	global_store_b32 v[0:1], v6, off offset:8
	;; [unrolled: 15-line block ×14, first 2 shown]
	global_store_b32 v[0:1], v4, off offset:120
	s_clause 0x1
	global_load_u8 v4, v[2:3], off offset:19
	global_load_b32 v5, v[2:3], off
	s_wait_loadcnt 0x1
	s_wait_xcnt 0x0
	v_dual_lshrrev_b32 v3, 4, v4 :: v_dual_bitop2_b32 v2, 15, v4 bitop3:0x40
	s_delay_alu instid0(VALU_DEP_1) | instskip(NEXT) | instid1(VALU_DEP_2)
	v_cvt_f32_ubyte0_e32 v2, v2
	v_cvt_f32_ubyte0_e32 v3, v3
	s_wait_loadcnt 0x0
	s_delay_alu instid0(VALU_DEP_2) | instskip(NEXT) | instid1(VALU_DEP_2)
	v_fma_mix_f32 v2, v5, v2, v5 op_sel:[0,0,1] op_sel_hi:[1,0,1]
	v_fma_mix_f32 v3, v5, v3, v5 op_sel:[0,0,1] op_sel_hi:[1,0,1]
	s_clause 0x1
	global_store_b32 v[0:1], v2, off offset:60
	global_store_b32 v[0:1], v3, off offset:124
.LBB5_26:
	s_endpgm
	.section	.rodata,"a",@progbits
	.p2align	6, 0x0
	.amdhsa_kernel _ZL9cpy_q_f32IXadL_ZL14cpy_blck_q_f32IXadL_ZL15dequantize_q4_1PKvliR15HIP_vector_typeIfLj2EEEELi32EEvPKcPcEELi32EEvS7_S8_lllllllllllllll
		.amdhsa_group_segment_fixed_size 0
		.amdhsa_private_segment_fixed_size 0
		.amdhsa_kernarg_size 392
		.amdhsa_user_sgpr_count 2
		.amdhsa_user_sgpr_dispatch_ptr 0
		.amdhsa_user_sgpr_queue_ptr 0
		.amdhsa_user_sgpr_kernarg_segment_ptr 1
		.amdhsa_user_sgpr_dispatch_id 0
		.amdhsa_user_sgpr_kernarg_preload_length 0
		.amdhsa_user_sgpr_kernarg_preload_offset 0
		.amdhsa_user_sgpr_private_segment_size 0
		.amdhsa_wavefront_size32 1
		.amdhsa_uses_dynamic_stack 0
		.amdhsa_enable_private_segment 0
		.amdhsa_system_sgpr_workgroup_id_x 1
		.amdhsa_system_sgpr_workgroup_id_y 0
		.amdhsa_system_sgpr_workgroup_id_z 0
		.amdhsa_system_sgpr_workgroup_info 0
		.amdhsa_system_vgpr_workitem_id 0
		.amdhsa_next_free_vgpr 30
		.amdhsa_next_free_sgpr 52
		.amdhsa_named_barrier_count 0
		.amdhsa_reserve_vcc 1
		.amdhsa_float_round_mode_32 0
		.amdhsa_float_round_mode_16_64 0
		.amdhsa_float_denorm_mode_32 3
		.amdhsa_float_denorm_mode_16_64 3
		.amdhsa_fp16_overflow 0
		.amdhsa_memory_ordered 1
		.amdhsa_forward_progress 1
		.amdhsa_inst_pref_size 53
		.amdhsa_round_robin_scheduling 0
		.amdhsa_exception_fp_ieee_invalid_op 0
		.amdhsa_exception_fp_denorm_src 0
		.amdhsa_exception_fp_ieee_div_zero 0
		.amdhsa_exception_fp_ieee_overflow 0
		.amdhsa_exception_fp_ieee_underflow 0
		.amdhsa_exception_fp_ieee_inexact 0
		.amdhsa_exception_int_div_zero 0
	.end_amdhsa_kernel
	.section	.text._ZL9cpy_q_f32IXadL_ZL14cpy_blck_q_f32IXadL_ZL15dequantize_q4_1PKvliR15HIP_vector_typeIfLj2EEEELi32EEvPKcPcEELi32EEvS7_S8_lllllllllllllll,"axG",@progbits,_ZL9cpy_q_f32IXadL_ZL14cpy_blck_q_f32IXadL_ZL15dequantize_q4_1PKvliR15HIP_vector_typeIfLj2EEEELi32EEvPKcPcEELi32EEvS7_S8_lllllllllllllll,comdat
.Lfunc_end5:
	.size	_ZL9cpy_q_f32IXadL_ZL14cpy_blck_q_f32IXadL_ZL15dequantize_q4_1PKvliR15HIP_vector_typeIfLj2EEEELi32EEvPKcPcEELi32EEvS7_S8_lllllllllllllll, .Lfunc_end5-_ZL9cpy_q_f32IXadL_ZL14cpy_blck_q_f32IXadL_ZL15dequantize_q4_1PKvliR15HIP_vector_typeIfLj2EEEELi32EEvPKcPcEELi32EEvS7_S8_lllllllllllllll
                                        ; -- End function
	.set _ZL9cpy_q_f32IXadL_ZL14cpy_blck_q_f32IXadL_ZL15dequantize_q4_1PKvliR15HIP_vector_typeIfLj2EEEELi32EEvPKcPcEELi32EEvS7_S8_lllllllllllllll.num_vgpr, 30
	.set _ZL9cpy_q_f32IXadL_ZL14cpy_blck_q_f32IXadL_ZL15dequantize_q4_1PKvliR15HIP_vector_typeIfLj2EEEELi32EEvPKcPcEELi32EEvS7_S8_lllllllllllllll.num_agpr, 0
	.set _ZL9cpy_q_f32IXadL_ZL14cpy_blck_q_f32IXadL_ZL15dequantize_q4_1PKvliR15HIP_vector_typeIfLj2EEEELi32EEvPKcPcEELi32EEvS7_S8_lllllllllllllll.numbered_sgpr, 52
	.set _ZL9cpy_q_f32IXadL_ZL14cpy_blck_q_f32IXadL_ZL15dequantize_q4_1PKvliR15HIP_vector_typeIfLj2EEEELi32EEvPKcPcEELi32EEvS7_S8_lllllllllllllll.num_named_barrier, 0
	.set _ZL9cpy_q_f32IXadL_ZL14cpy_blck_q_f32IXadL_ZL15dequantize_q4_1PKvliR15HIP_vector_typeIfLj2EEEELi32EEvPKcPcEELi32EEvS7_S8_lllllllllllllll.private_seg_size, 0
	.set _ZL9cpy_q_f32IXadL_ZL14cpy_blck_q_f32IXadL_ZL15dequantize_q4_1PKvliR15HIP_vector_typeIfLj2EEEELi32EEvPKcPcEELi32EEvS7_S8_lllllllllllllll.uses_vcc, 1
	.set _ZL9cpy_q_f32IXadL_ZL14cpy_blck_q_f32IXadL_ZL15dequantize_q4_1PKvliR15HIP_vector_typeIfLj2EEEELi32EEvPKcPcEELi32EEvS7_S8_lllllllllllllll.uses_flat_scratch, 0
	.set _ZL9cpy_q_f32IXadL_ZL14cpy_blck_q_f32IXadL_ZL15dequantize_q4_1PKvliR15HIP_vector_typeIfLj2EEEELi32EEvPKcPcEELi32EEvS7_S8_lllllllllllllll.has_dyn_sized_stack, 0
	.set _ZL9cpy_q_f32IXadL_ZL14cpy_blck_q_f32IXadL_ZL15dequantize_q4_1PKvliR15HIP_vector_typeIfLj2EEEELi32EEvPKcPcEELi32EEvS7_S8_lllllllllllllll.has_recursion, 0
	.set _ZL9cpy_q_f32IXadL_ZL14cpy_blck_q_f32IXadL_ZL15dequantize_q4_1PKvliR15HIP_vector_typeIfLj2EEEELi32EEvPKcPcEELi32EEvS7_S8_lllllllllllllll.has_indirect_call, 0
	.section	.AMDGPU.csdata,"",@progbits
; Kernel info:
; codeLenInByte = 6748
; TotalNumSgprs: 54
; NumVgprs: 30
; ScratchSize: 0
; MemoryBound: 0
; FloatMode: 240
; IeeeMode: 1
; LDSByteSize: 0 bytes/workgroup (compile time only)
; SGPRBlocks: 0
; VGPRBlocks: 1
; NumSGPRsForWavesPerEU: 54
; NumVGPRsForWavesPerEU: 30
; NamedBarCnt: 0
; Occupancy: 16
; WaveLimiterHint : 0
; COMPUTE_PGM_RSRC2:SCRATCH_EN: 0
; COMPUTE_PGM_RSRC2:USER_SGPR: 2
; COMPUTE_PGM_RSRC2:TRAP_HANDLER: 0
; COMPUTE_PGM_RSRC2:TGID_X_EN: 1
; COMPUTE_PGM_RSRC2:TGID_Y_EN: 0
; COMPUTE_PGM_RSRC2:TGID_Z_EN: 0
; COMPUTE_PGM_RSRC2:TIDIG_COMP_CNT: 0
	.section	.text._ZL9cpy_f32_qIXadL_ZL17cpy_blck_f32_q5_0PKcPcEELi32EEvS1_S2_lllllllllllllll,"axG",@progbits,_ZL9cpy_f32_qIXadL_ZL17cpy_blck_f32_q5_0PKcPcEELi32EEvS1_S2_lllllllllllllll,comdat
	.globl	_ZL9cpy_f32_qIXadL_ZL17cpy_blck_f32_q5_0PKcPcEELi32EEvS1_S2_lllllllllllllll ; -- Begin function _ZL9cpy_f32_qIXadL_ZL17cpy_blck_f32_q5_0PKcPcEELi32EEvS1_S2_lllllllllllllll
	.p2align	8
	.type	_ZL9cpy_f32_qIXadL_ZL17cpy_blck_f32_q5_0PKcPcEELi32EEvS1_S2_lllllllllllllll,@function
_ZL9cpy_f32_qIXadL_ZL17cpy_blck_f32_q5_0PKcPcEELi32EEvS1_S2_lllllllllllllll: ; @_ZL9cpy_f32_qIXadL_ZL17cpy_blck_f32_q5_0PKcPcEELi32EEvS1_S2_lllllllllllllll
; %bb.0:
	s_load_b32 s2, s[0:1], 0x94
	s_bfe_u32 s3, ttmp6, 0x4000c
	v_mov_b32_e32 v2, 0
	s_add_co_i32 s3, s3, 1
	s_and_b32 s4, ttmp6, 15
	s_mul_i32 s3, ttmp9, s3
	s_getreg_b32 s5, hwreg(HW_REG_IB_STS2, 6, 4)
	v_mov_b32_e32 v1, v2
	s_add_co_i32 s3, s4, s3
	s_wait_kmcnt 0x0
	s_and_b32 s2, s2, 0xffff
	s_cmp_eq_u32 s5, 0
	s_load_b512 s[4:19], s[0:1], 0x0
	s_cselect_b32 s3, ttmp9, s3
	s_delay_alu instid0(SALU_CYCLE_1) | instskip(SKIP_1) | instid1(VALU_DEP_1)
	v_mad_nc_u64_u32 v[0:1], s2, s3, v[0:1]
	s_mov_b32 s2, exec_lo
	v_lshlrev_b64_e32 v[6:7], 5, v[0:1]
	s_wait_kmcnt 0x0
	s_delay_alu instid0(VALU_DEP_1)
	v_cmpx_gt_i64_e64 s[8:9], v[6:7]
	s_cbranch_execz .LBB6_28
; %bb.1:
	s_mul_u64 s[8:9], s[12:13], s[10:11]
                                        ; implicit-def: $vgpr0_vgpr1
	s_mov_b32 s2, exec_lo
	s_mul_u64 s[12:13], s[8:9], s[14:15]
	s_delay_alu instid0(SALU_CYCLE_1) | instskip(NEXT) | instid1(VALU_DEP_1)
	v_dual_ashrrev_i32 v10, 31, v7 :: v_dual_bitop2_b32 v3, s13, v7 bitop3:0x54
	v_cmpx_ne_u64_e32 0, v[2:3]
	s_xor_b32 s3, exec_lo, s2
	s_cbranch_execz .LBB6_3
; %bb.2:
	s_ashr_i32 s14, s13, 31
	s_mov_b32 s29, 0
	s_mov_b32 s15, s14
	v_dual_mov_b32 v11, v10 :: v_dual_mov_b32 v3, 0
	s_add_nc_u64 s[20:21], s[12:13], s[14:15]
	s_delay_alu instid0(SALU_CYCLE_1) | instskip(NEXT) | instid1(VALU_DEP_1)
	s_xor_b64 s[20:21], s[20:21], s[14:15]
	v_add_nc_u64_e32 v[0:1], v[6:7], v[10:11]
	s_cvt_f32_u32 s2, s20
	s_cvt_f32_u32 s15, s21
	s_sub_nc_u64 s[24:25], 0, s[20:21]
	v_dual_mov_b32 v5, v3 :: v_dual_mov_b32 v15, v3
	s_delay_alu instid0(SALU_CYCLE_1) | instskip(NEXT) | instid1(VALU_DEP_2)
	s_fmamk_f32 s2, s15, 0x4f800000, s2
	v_xor_b32_e32 v2, v0, v10
	v_xor_b32_e32 v4, v1, v10
	s_delay_alu instid0(SALU_CYCLE_1) | instskip(NEXT) | instid1(TRANS32_DEP_1)
	v_s_rcp_f32 s2, s2
	s_mul_f32 s2, s2, 0x5f7ffffc
	s_delay_alu instid0(SALU_CYCLE_3) | instskip(NEXT) | instid1(SALU_CYCLE_3)
	s_mul_f32 s15, s2, 0x2f800000
	s_trunc_f32 s15, s15
	s_delay_alu instid0(SALU_CYCLE_3) | instskip(SKIP_1) | instid1(SALU_CYCLE_2)
	s_fmamk_f32 s2, s15, 0xcf800000, s2
	s_cvt_u32_f32 s23, s15
	s_cvt_u32_f32 s22, s2
	s_delay_alu instid0(SALU_CYCLE_3) | instskip(NEXT) | instid1(SALU_CYCLE_1)
	s_mul_u64 s[26:27], s[24:25], s[22:23]
	s_mul_hi_u32 s31, s22, s27
	s_mul_i32 s30, s22, s27
	s_mul_hi_u32 s28, s22, s26
	s_mul_i32 s15, s23, s26
	s_add_nc_u64 s[30:31], s[28:29], s[30:31]
	s_mul_hi_u32 s2, s23, s26
	s_mul_hi_u32 s33, s23, s27
	s_add_co_u32 s15, s30, s15
	s_add_co_ci_u32 s28, s31, s2
	s_mul_i32 s26, s23, s27
	s_add_co_ci_u32 s27, s33, 0
	s_delay_alu instid0(SALU_CYCLE_1) | instskip(NEXT) | instid1(SALU_CYCLE_1)
	s_add_nc_u64 s[26:27], s[28:29], s[26:27]
	s_add_co_u32 s22, s22, s26
	s_cselect_b32 s2, -1, 0
	s_delay_alu instid0(SALU_CYCLE_1) | instskip(SKIP_1) | instid1(SALU_CYCLE_1)
	s_cmp_lg_u32 s2, 0
	s_add_co_ci_u32 s23, s23, s27
	s_mul_u64 s[24:25], s[24:25], s[22:23]
	s_delay_alu instid0(SALU_CYCLE_1)
	s_mul_hi_u32 s27, s22, s25
	s_mul_i32 s26, s22, s25
	s_mul_hi_u32 s28, s22, s24
	s_mul_i32 s15, s23, s24
	s_add_nc_u64 s[26:27], s[28:29], s[26:27]
	s_mul_hi_u32 s2, s23, s24
	s_mul_hi_u32 s30, s23, s25
	s_add_co_u32 s15, s26, s15
	s_add_co_ci_u32 s28, s27, s2
	s_mul_i32 s24, s23, s25
	s_add_co_ci_u32 s25, s30, 0
	s_delay_alu instid0(SALU_CYCLE_1) | instskip(NEXT) | instid1(SALU_CYCLE_1)
	s_add_nc_u64 s[24:25], s[28:29], s[24:25]
	s_add_co_u32 s2, s22, s24
	s_cselect_b32 s15, -1, 0
	v_nop
	v_mul_hi_u32 v14, v2, s2
	s_cmp_lg_u32 s15, 0
	s_add_co_ci_u32 s28, s23, s25
	s_mov_b64 s[22:23], 0xffffffff
	v_mul_u64_e32 v[8:9], s[28:29], v[2:3]
	s_and_b64 s[22:23], s[2:3], s[22:23]
	v_mul_u64_e32 v[12:13], s[28:29], v[4:5]
	v_mul_u64_e32 v[0:1], s[22:23], v[4:5]
	s_delay_alu instid0(VALU_DEP_3) | instskip(NEXT) | instid1(VALU_DEP_1)
	v_add_nc_u64_e32 v[8:9], v[14:15], v[8:9]
	v_add_co_u32 v0, vcc_lo, v8, v0
	s_delay_alu instid0(VALU_DEP_2) | instskip(SKIP_1) | instid1(VALU_DEP_1)
	v_add_co_ci_u32_e32 v14, vcc_lo, v9, v1, vcc_lo
	v_add_co_ci_u32_e32 v13, vcc_lo, 0, v13, vcc_lo
	v_add_nc_u64_e32 v[0:1], v[14:15], v[12:13]
	s_delay_alu instid0(VALU_DEP_1) | instskip(NEXT) | instid1(VALU_DEP_1)
	v_mul_u64_e32 v[8:9], s[20:21], v[0:1]
	v_sub_nc_u32_e32 v3, v4, v9
	s_delay_alu instid0(VALU_DEP_2) | instskip(NEXT) | instid1(VALU_DEP_1)
	v_sub_co_u32 v2, vcc_lo, v2, v8
	v_sub_co_ci_u32_e64 v8, null, v4, v9, vcc_lo
	s_delay_alu instid0(VALU_DEP_3) | instskip(NEXT) | instid1(VALU_DEP_3)
	v_subrev_co_ci_u32_e64 v3, null, s21, v3, vcc_lo
	v_sub_co_u32 v5, s2, v2, s20
	s_delay_alu instid0(VALU_DEP_1) | instskip(NEXT) | instid1(VALU_DEP_2)
	v_subrev_co_ci_u32_e64 v3, null, 0, v3, s2
	v_cmp_le_u32_e32 vcc_lo, s20, v5
	v_cndmask_b32_e64 v4, 0, -1, vcc_lo
	s_delay_alu instid0(VALU_DEP_3)
	v_cmp_le_u32_e32 vcc_lo, s21, v3
	v_cndmask_b32_e64 v5, 0, -1, vcc_lo
	v_cmp_le_u32_e32 vcc_lo, s20, v2
	v_cndmask_b32_e64 v9, 0, -1, vcc_lo
	;; [unrolled: 2-line block ×3, first 2 shown]
	v_cmp_eq_u32_e32 vcc_lo, s21, v3
	v_add_nc_u64_e32 v[2:3], 2, v[0:1]
	v_cndmask_b32_e32 v12, v5, v4, vcc_lo
	v_cmp_eq_u32_e32 vcc_lo, s21, v8
	v_add_nc_u64_e32 v[4:5], 1, v[0:1]
	v_cndmask_b32_e32 v8, v11, v9, vcc_lo
	s_delay_alu instid0(VALU_DEP_4) | instskip(NEXT) | instid1(VALU_DEP_3)
	v_cmp_ne_u32_e32 vcc_lo, 0, v12
	v_cndmask_b32_e32 v3, v5, v3, vcc_lo
	s_delay_alu instid0(VALU_DEP_3) | instskip(NEXT) | instid1(VALU_DEP_1)
	v_cmp_ne_u32_e64 s2, 0, v8
	v_dual_cndmask_b32 v4, v4, v2, vcc_lo :: v_dual_cndmask_b32 v1, v1, v3, s2
	s_delay_alu instid0(VALU_DEP_1) | instskip(NEXT) | instid1(VALU_DEP_1)
	v_dual_cndmask_b32 v0, v0, v4, s2 :: v_dual_bitop2_b32 v2, s14, v10 bitop3:0x14
	v_dual_mov_b32 v3, v2 :: v_dual_bitop2_b32 v1, v1, v2 bitop3:0x14
	s_delay_alu instid0(VALU_DEP_2) | instskip(NEXT) | instid1(VALU_DEP_1)
	v_xor_b32_e32 v0, v0, v2
	v_sub_nc_u64_e32 v[0:1], v[0:1], v[2:3]
.LBB6_3:
	s_and_not1_saveexec_b32 s2, s3
	s_cbranch_execz .LBB6_5
; %bb.4:
	v_cvt_f32_u32_e32 v0, s12
	s_sub_co_i32 s3, 0, s12
	s_delay_alu instid0(VALU_DEP_1) | instskip(SKIP_1) | instid1(TRANS32_DEP_1)
	v_rcp_iflag_f32_e32 v0, v0
	v_nop
	v_mul_f32_e32 v0, 0x4f7ffffe, v0
	s_delay_alu instid0(VALU_DEP_1) | instskip(NEXT) | instid1(VALU_DEP_1)
	v_cvt_u32_f32_e32 v0, v0
	v_mul_lo_u32 v1, s3, v0
	s_delay_alu instid0(VALU_DEP_1) | instskip(NEXT) | instid1(VALU_DEP_1)
	v_mul_hi_u32 v1, v0, v1
	v_add_nc_u32_e32 v0, v0, v1
	s_delay_alu instid0(VALU_DEP_1) | instskip(NEXT) | instid1(VALU_DEP_1)
	v_mul_hi_u32 v0, v6, v0
	v_mul_lo_u32 v1, v0, s12
	s_delay_alu instid0(VALU_DEP_1) | instskip(NEXT) | instid1(VALU_DEP_1)
	v_dual_add_nc_u32 v2, 1, v0 :: v_dual_sub_nc_u32 v1, v6, v1
	v_subrev_nc_u32_e32 v3, s12, v1
	v_cmp_le_u32_e32 vcc_lo, s12, v1
	s_delay_alu instid0(VALU_DEP_2) | instskip(NEXT) | instid1(VALU_DEP_1)
	v_dual_cndmask_b32 v1, v1, v3 :: v_dual_cndmask_b32 v0, v0, v2
	v_cmp_le_u32_e32 vcc_lo, s12, v1
	s_delay_alu instid0(VALU_DEP_2) | instskip(NEXT) | instid1(VALU_DEP_1)
	v_dual_mov_b32 v1, 0 :: v_dual_add_nc_u32 v2, 1, v0
	v_cndmask_b32_e32 v0, v0, v2, vcc_lo
.LBB6_5:
	s_or_b32 exec_lo, exec_lo, s2
	s_delay_alu instid0(VALU_DEP_1) | instskip(SKIP_2) | instid1(VALU_DEP_2)
	v_mul_u64_e32 v[2:3], s[12:13], v[0:1]
                                        ; implicit-def: $vgpr4_vgpr5
	s_mov_b32 s2, exec_lo
	v_mov_b32_e32 v8, 0
	v_sub_nc_u64_e32 v[2:3], v[6:7], v[2:3]
	s_delay_alu instid0(VALU_DEP_1) | instskip(NEXT) | instid1(VALU_DEP_1)
	v_or_b32_e32 v9, s9, v3
	v_cmpx_ne_u64_e32 0, v[8:9]
	s_xor_b32 s3, exec_lo, s2
	s_cbranch_execz .LBB6_7
; %bb.6:
	s_ashr_i32 s12, s9, 31
	s_mov_b32 s27, 0
	s_mov_b32 s13, s12
	v_dual_mov_b32 v15, v8 :: v_dual_ashrrev_i32 v4, 31, v3
	s_add_nc_u64 s[14:15], s[8:9], s[12:13]
	v_mov_b32_e32 v17, v8
	s_xor_b64 s[14:15], s[14:15], s[12:13]
	s_delay_alu instid0(VALU_DEP_2)
	v_mov_b32_e32 v5, v4
	s_cvt_f32_u32 s2, s14
	s_cvt_f32_u32 s13, s15
	s_sub_nc_u64 s[22:23], 0, s[14:15]
	v_mov_b32_e32 v9, v8
	v_add_nc_u64_e32 v[12:13], v[2:3], v[4:5]
	s_fmamk_f32 s2, s13, 0x4f800000, s2
	v_mov_b32_e32 v23, v8
	s_delay_alu instid0(SALU_CYCLE_2) | instskip(NEXT) | instid1(VALU_DEP_2)
	v_s_rcp_f32 s2, s2
	v_xor_b32_e32 v14, v12, v4
	s_delay_alu instid0(VALU_DEP_3) | instskip(SKIP_1) | instid1(TRANS32_DEP_1)
	v_xor_b32_e32 v16, v13, v4
	v_xor_b32_e32 v4, s12, v4
	s_mul_f32 s2, s2, 0x5f7ffffc
	s_delay_alu instid0(SALU_CYCLE_3) | instskip(NEXT) | instid1(SALU_CYCLE_3)
	s_mul_f32 s13, s2, 0x2f800000
	s_trunc_f32 s13, s13
	s_delay_alu instid0(SALU_CYCLE_3) | instskip(SKIP_1) | instid1(SALU_CYCLE_2)
	s_fmamk_f32 s2, s13, 0xcf800000, s2
	s_cvt_u32_f32 s21, s13
	s_cvt_u32_f32 s20, s2
	s_delay_alu instid0(SALU_CYCLE_3) | instskip(NEXT) | instid1(SALU_CYCLE_1)
	s_mul_u64 s[24:25], s[22:23], s[20:21]
	s_mul_hi_u32 s29, s20, s25
	s_mul_i32 s28, s20, s25
	s_mul_hi_u32 s26, s20, s24
	s_mul_i32 s13, s21, s24
	s_add_nc_u64 s[28:29], s[26:27], s[28:29]
	s_mul_hi_u32 s2, s21, s24
	s_mul_hi_u32 s30, s21, s25
	s_add_co_u32 s13, s28, s13
	s_add_co_ci_u32 s26, s29, s2
	s_mul_i32 s24, s21, s25
	s_add_co_ci_u32 s25, s30, 0
	s_delay_alu instid0(SALU_CYCLE_1) | instskip(NEXT) | instid1(SALU_CYCLE_1)
	s_add_nc_u64 s[24:25], s[26:27], s[24:25]
	s_add_co_u32 s20, s20, s24
	s_cselect_b32 s2, -1, 0
	s_delay_alu instid0(SALU_CYCLE_1) | instskip(SKIP_1) | instid1(SALU_CYCLE_1)
	s_cmp_lg_u32 s2, 0
	s_add_co_ci_u32 s21, s21, s25
	s_mul_u64 s[22:23], s[22:23], s[20:21]
	s_delay_alu instid0(SALU_CYCLE_1)
	s_mul_hi_u32 s25, s20, s23
	s_mul_i32 s24, s20, s23
	s_mul_hi_u32 s26, s20, s22
	s_mul_i32 s13, s21, s22
	s_add_nc_u64 s[24:25], s[26:27], s[24:25]
	s_mul_hi_u32 s2, s21, s22
	s_mul_hi_u32 s28, s21, s23
	s_add_co_u32 s13, s24, s13
	s_add_co_ci_u32 s26, s25, s2
	s_mul_i32 s22, s21, s23
	s_add_co_ci_u32 s23, s28, 0
	s_delay_alu instid0(SALU_CYCLE_1) | instskip(NEXT) | instid1(SALU_CYCLE_1)
	s_add_nc_u64 s[22:23], s[26:27], s[22:23]
	s_add_co_u32 s2, s20, s22
	s_cselect_b32 s13, -1, 0
	v_mul_hi_u32 v22, v14, s2
	s_cmp_lg_u32 s13, 0
	s_add_co_ci_u32 s26, s21, s23
	s_mov_b64 s[20:21], 0xffffffff
	v_mul_u64_e32 v[18:19], s[26:27], v[14:15]
	s_and_b64 s[20:21], s[2:3], s[20:21]
	v_mul_u64_e32 v[20:21], s[26:27], v[16:17]
	v_mul_u64_e32 v[12:13], s[20:21], v[16:17]
	s_delay_alu instid0(VALU_DEP_3) | instskip(NEXT) | instid1(VALU_DEP_1)
	v_add_nc_u64_e32 v[18:19], v[22:23], v[18:19]
	v_add_co_u32 v5, vcc_lo, v18, v12
	s_delay_alu instid0(VALU_DEP_2) | instskip(SKIP_1) | instid1(VALU_DEP_1)
	v_add_co_ci_u32_e32 v8, vcc_lo, v19, v13, vcc_lo
	v_add_co_ci_u32_e32 v21, vcc_lo, 0, v21, vcc_lo
	v_add_nc_u64_e32 v[8:9], v[8:9], v[20:21]
	s_delay_alu instid0(VALU_DEP_1) | instskip(NEXT) | instid1(VALU_DEP_1)
	v_mul_u64_e32 v[12:13], s[14:15], v[8:9]
	v_sub_co_u32 v11, vcc_lo, v14, v12
	v_add_nc_u64_e32 v[14:15], 1, v[8:9]
	s_delay_alu instid0(VALU_DEP_3) | instskip(SKIP_1) | instid1(VALU_DEP_4)
	v_sub_nc_u32_e32 v5, v16, v13
	v_sub_co_ci_u32_e64 v16, null, v16, v13, vcc_lo
	v_sub_co_u32 v12, s2, v11, s14
	s_delay_alu instid0(VALU_DEP_3) | instskip(NEXT) | instid1(VALU_DEP_2)
	v_subrev_co_ci_u32_e64 v5, null, s15, v5, vcc_lo
	v_cmp_le_u32_e32 vcc_lo, s14, v12
	s_delay_alu instid0(VALU_DEP_2) | instskip(SKIP_1) | instid1(VALU_DEP_2)
	v_subrev_co_ci_u32_e64 v5, null, 0, v5, s2
	v_cndmask_b32_e64 v12, 0, -1, vcc_lo
	v_cmp_le_u32_e32 vcc_lo, s15, v5
	v_cndmask_b32_e64 v13, 0, -1, vcc_lo
	v_cmp_le_u32_e32 vcc_lo, s14, v11
	;; [unrolled: 2-line block ×3, first 2 shown]
	v_cndmask_b32_e64 v17, 0, -1, vcc_lo
	v_cmp_eq_u32_e32 vcc_lo, s15, v5
	v_cndmask_b32_e32 v5, v13, v12, vcc_lo
	v_cmp_eq_u32_e32 vcc_lo, s15, v16
	v_add_nc_u64_e32 v[12:13], 2, v[8:9]
	v_cndmask_b32_e32 v11, v17, v11, vcc_lo
	s_delay_alu instid0(VALU_DEP_4) | instskip(NEXT) | instid1(VALU_DEP_2)
	v_cmp_ne_u32_e32 vcc_lo, 0, v5
	v_cmp_ne_u32_e64 s2, 0, v11
	s_delay_alu instid0(VALU_DEP_4) | instskip(NEXT) | instid1(VALU_DEP_1)
	v_dual_cndmask_b32 v5, v15, v13, vcc_lo :: v_dual_cndmask_b32 v11, v14, v12, vcc_lo
	v_dual_cndmask_b32 v9, v9, v5, s2 :: v_dual_cndmask_b32 v8, v8, v11, s2
	s_delay_alu instid0(VALU_DEP_1) | instskip(NEXT) | instid1(VALU_DEP_2)
	v_dual_mov_b32 v5, v4 :: v_dual_bitop2_b32 v9, v9, v4 bitop3:0x14
	v_xor_b32_e32 v8, v8, v4
	s_delay_alu instid0(VALU_DEP_1)
	v_sub_nc_u64_e32 v[4:5], v[8:9], v[4:5]
.LBB6_7:
	s_and_not1_saveexec_b32 s2, s3
	s_cbranch_execz .LBB6_9
; %bb.8:
	v_cvt_f32_u32_e32 v4, s8
	s_sub_co_i32 s3, 0, s8
	s_delay_alu instid0(VALU_DEP_1) | instskip(SKIP_1) | instid1(TRANS32_DEP_1)
	v_rcp_iflag_f32_e32 v4, v4
	v_nop
	v_mul_f32_e32 v4, 0x4f7ffffe, v4
	s_delay_alu instid0(VALU_DEP_1) | instskip(NEXT) | instid1(VALU_DEP_1)
	v_cvt_u32_f32_e32 v4, v4
	v_mul_lo_u32 v5, s3, v4
	s_delay_alu instid0(VALU_DEP_1) | instskip(NEXT) | instid1(VALU_DEP_1)
	v_mul_hi_u32 v5, v4, v5
	v_add_nc_u32_e32 v4, v4, v5
	s_delay_alu instid0(VALU_DEP_1) | instskip(NEXT) | instid1(VALU_DEP_1)
	v_mul_hi_u32 v4, v2, v4
	v_mul_lo_u32 v5, v4, s8
	s_delay_alu instid0(VALU_DEP_1) | instskip(NEXT) | instid1(VALU_DEP_1)
	v_sub_nc_u32_e32 v5, v2, v5
	v_subrev_nc_u32_e32 v9, s8, v5
	v_cmp_le_u32_e32 vcc_lo, s8, v5
	s_delay_alu instid0(VALU_DEP_2) | instskip(NEXT) | instid1(VALU_DEP_1)
	v_dual_cndmask_b32 v5, v5, v9 :: v_dual_add_nc_u32 v8, 1, v4
	v_cndmask_b32_e32 v4, v4, v8, vcc_lo
	s_delay_alu instid0(VALU_DEP_2) | instskip(NEXT) | instid1(VALU_DEP_2)
	v_cmp_le_u32_e32 vcc_lo, s8, v5
	v_dual_mov_b32 v5, 0 :: v_dual_add_nc_u32 v8, 1, v4
	s_delay_alu instid0(VALU_DEP_1)
	v_cndmask_b32_e32 v4, v4, v8, vcc_lo
.LBB6_9:
	s_or_b32 exec_lo, exec_lo, s2
	s_delay_alu instid0(VALU_DEP_1) | instskip(SKIP_2) | instid1(VALU_DEP_2)
	v_mul_u64_e32 v[8:9], s[8:9], v[4:5]
	s_mov_b32 s2, exec_lo
	v_mov_b32_e32 v12, 0
	v_sub_nc_u64_e32 v[8:9], v[2:3], v[8:9]
                                        ; implicit-def: $vgpr2_vgpr3
	s_delay_alu instid0(VALU_DEP_1) | instskip(NEXT) | instid1(VALU_DEP_1)
	v_or_b32_e32 v13, s11, v9
	v_cmpx_ne_u64_e32 0, v[12:13]
	s_xor_b32 s3, exec_lo, s2
	s_cbranch_execz .LBB6_11
; %bb.10:
	s_ashr_i32 s8, s11, 31
	s_mov_b32 s25, 0
	s_mov_b32 s9, s8
	v_dual_mov_b32 v17, v12 :: v_dual_ashrrev_i32 v2, 31, v9
	s_add_nc_u64 s[12:13], s[10:11], s[8:9]
	v_mov_b32_e32 v19, v12
	s_xor_b64 s[12:13], s[12:13], s[8:9]
	s_delay_alu instid0(VALU_DEP_2)
	v_mov_b32_e32 v3, v2
	s_cvt_f32_u32 s2, s12
	s_cvt_f32_u32 s9, s13
	s_sub_nc_u64 s[20:21], 0, s[12:13]
	v_mov_b32_e32 v25, v12
	v_add_nc_u64_e32 v[14:15], v[8:9], v[2:3]
	s_fmamk_f32 s2, s9, 0x4f800000, s2
	v_mov_b32_e32 v13, v12
	s_delay_alu instid0(SALU_CYCLE_2) | instskip(NEXT) | instid1(VALU_DEP_2)
	v_s_rcp_f32 s2, s2
	v_xor_b32_e32 v16, v14, v2
	s_delay_alu instid0(VALU_DEP_3) | instskip(SKIP_1) | instid1(TRANS32_DEP_1)
	v_xor_b32_e32 v18, v15, v2
	v_xor_b32_e32 v2, s8, v2
	s_mul_f32 s2, s2, 0x5f7ffffc
	s_delay_alu instid0(SALU_CYCLE_3) | instskip(NEXT) | instid1(SALU_CYCLE_3)
	s_mul_f32 s9, s2, 0x2f800000
	s_trunc_f32 s9, s9
	s_delay_alu instid0(SALU_CYCLE_3) | instskip(SKIP_1) | instid1(SALU_CYCLE_2)
	s_fmamk_f32 s2, s9, 0xcf800000, s2
	s_cvt_u32_f32 s15, s9
	s_cvt_u32_f32 s14, s2
	s_delay_alu instid0(SALU_CYCLE_3) | instskip(NEXT) | instid1(SALU_CYCLE_1)
	s_mul_u64 s[22:23], s[20:21], s[14:15]
	s_mul_hi_u32 s27, s14, s23
	s_mul_i32 s26, s14, s23
	s_mul_hi_u32 s24, s14, s22
	s_mul_i32 s9, s15, s22
	s_add_nc_u64 s[26:27], s[24:25], s[26:27]
	s_mul_hi_u32 s2, s15, s22
	s_mul_hi_u32 s28, s15, s23
	s_add_co_u32 s9, s26, s9
	s_add_co_ci_u32 s24, s27, s2
	s_mul_i32 s22, s15, s23
	s_add_co_ci_u32 s23, s28, 0
	s_delay_alu instid0(SALU_CYCLE_1) | instskip(NEXT) | instid1(SALU_CYCLE_1)
	s_add_nc_u64 s[22:23], s[24:25], s[22:23]
	s_add_co_u32 s14, s14, s22
	s_cselect_b32 s2, -1, 0
	s_delay_alu instid0(SALU_CYCLE_1) | instskip(SKIP_1) | instid1(SALU_CYCLE_1)
	s_cmp_lg_u32 s2, 0
	s_add_co_ci_u32 s15, s15, s23
	s_mul_u64 s[20:21], s[20:21], s[14:15]
	s_delay_alu instid0(SALU_CYCLE_1)
	s_mul_hi_u32 s23, s14, s21
	s_mul_i32 s22, s14, s21
	s_mul_hi_u32 s24, s14, s20
	s_mul_i32 s9, s15, s20
	s_add_nc_u64 s[22:23], s[24:25], s[22:23]
	s_mul_hi_u32 s2, s15, s20
	s_mul_hi_u32 s26, s15, s21
	s_add_co_u32 s9, s22, s9
	s_add_co_ci_u32 s24, s23, s2
	s_mul_i32 s20, s15, s21
	s_add_co_ci_u32 s21, s26, 0
	s_delay_alu instid0(SALU_CYCLE_1) | instskip(NEXT) | instid1(SALU_CYCLE_1)
	s_add_nc_u64 s[20:21], s[24:25], s[20:21]
	s_add_co_u32 s2, s14, s20
	s_cselect_b32 s9, -1, 0
	v_mul_hi_u32 v24, v16, s2
	s_cmp_lg_u32 s9, 0
	s_add_co_ci_u32 s24, s15, s21
	s_mov_b64 s[14:15], 0xffffffff
	v_mul_u64_e32 v[20:21], s[24:25], v[16:17]
	s_and_b64 s[14:15], s[2:3], s[14:15]
	v_mul_u64_e32 v[22:23], s[24:25], v[18:19]
	v_mul_u64_e32 v[14:15], s[14:15], v[18:19]
	s_delay_alu instid0(VALU_DEP_3) | instskip(NEXT) | instid1(VALU_DEP_1)
	v_add_nc_u64_e32 v[20:21], v[24:25], v[20:21]
	v_add_co_u32 v3, vcc_lo, v20, v14
	s_delay_alu instid0(VALU_DEP_2) | instskip(SKIP_1) | instid1(VALU_DEP_1)
	v_add_co_ci_u32_e32 v12, vcc_lo, v21, v15, vcc_lo
	v_add_co_ci_u32_e32 v23, vcc_lo, 0, v23, vcc_lo
	v_add_nc_u64_e32 v[12:13], v[12:13], v[22:23]
	s_delay_alu instid0(VALU_DEP_1) | instskip(NEXT) | instid1(VALU_DEP_1)
	v_mul_u64_e32 v[14:15], s[12:13], v[12:13]
	v_sub_co_u32 v11, vcc_lo, v16, v14
	v_add_nc_u64_e32 v[16:17], 1, v[12:13]
	s_delay_alu instid0(VALU_DEP_3) | instskip(SKIP_1) | instid1(VALU_DEP_4)
	v_sub_nc_u32_e32 v3, v18, v15
	v_sub_co_ci_u32_e64 v18, null, v18, v15, vcc_lo
	v_sub_co_u32 v14, s2, v11, s12
	s_delay_alu instid0(VALU_DEP_3) | instskip(NEXT) | instid1(VALU_DEP_2)
	v_subrev_co_ci_u32_e64 v3, null, s13, v3, vcc_lo
	v_cmp_le_u32_e32 vcc_lo, s12, v14
	s_delay_alu instid0(VALU_DEP_2) | instskip(SKIP_1) | instid1(VALU_DEP_2)
	v_subrev_co_ci_u32_e64 v3, null, 0, v3, s2
	v_cndmask_b32_e64 v14, 0, -1, vcc_lo
	v_cmp_le_u32_e32 vcc_lo, s13, v3
	v_cndmask_b32_e64 v15, 0, -1, vcc_lo
	v_cmp_le_u32_e32 vcc_lo, s12, v11
	;; [unrolled: 2-line block ×3, first 2 shown]
	v_cndmask_b32_e64 v19, 0, -1, vcc_lo
	v_cmp_eq_u32_e32 vcc_lo, s13, v3
	v_cndmask_b32_e32 v3, v15, v14, vcc_lo
	v_cmp_eq_u32_e32 vcc_lo, s13, v18
	v_add_nc_u64_e32 v[14:15], 2, v[12:13]
	v_cndmask_b32_e32 v11, v19, v11, vcc_lo
	s_delay_alu instid0(VALU_DEP_4) | instskip(NEXT) | instid1(VALU_DEP_2)
	v_cmp_ne_u32_e32 vcc_lo, 0, v3
	v_cmp_ne_u32_e64 s2, 0, v11
	s_delay_alu instid0(VALU_DEP_4) | instskip(NEXT) | instid1(VALU_DEP_1)
	v_cndmask_b32_e32 v11, v16, v14, vcc_lo
	v_cndmask_b32_e64 v11, v12, v11, s2
	s_delay_alu instid0(VALU_DEP_1) | instskip(NEXT) | instid1(VALU_DEP_1)
	v_dual_cndmask_b32 v3, v17, v15, vcc_lo :: v_dual_bitop2_b32 v12, v11, v2 bitop3:0x14
	v_dual_cndmask_b32 v13, v13, v3, s2 :: v_dual_mov_b32 v3, v2
	s_delay_alu instid0(VALU_DEP_1) | instskip(NEXT) | instid1(VALU_DEP_1)
	v_xor_b32_e32 v13, v13, v2
	v_sub_nc_u64_e32 v[2:3], v[12:13], v[2:3]
.LBB6_11:
	s_and_not1_saveexec_b32 s2, s3
	s_cbranch_execz .LBB6_13
; %bb.12:
	v_cvt_f32_u32_e32 v2, s10
	s_sub_co_i32 s3, 0, s10
	s_delay_alu instid0(VALU_DEP_1) | instskip(SKIP_1) | instid1(TRANS32_DEP_1)
	v_rcp_iflag_f32_e32 v2, v2
	v_nop
	v_mul_f32_e32 v2, 0x4f7ffffe, v2
	s_delay_alu instid0(VALU_DEP_1) | instskip(NEXT) | instid1(VALU_DEP_1)
	v_cvt_u32_f32_e32 v2, v2
	v_mul_lo_u32 v3, s3, v2
	s_delay_alu instid0(VALU_DEP_1) | instskip(NEXT) | instid1(VALU_DEP_1)
	v_mul_hi_u32 v3, v2, v3
	v_add_nc_u32_e32 v2, v2, v3
	s_delay_alu instid0(VALU_DEP_1) | instskip(NEXT) | instid1(VALU_DEP_1)
	v_mul_hi_u32 v2, v8, v2
	v_mul_lo_u32 v3, v2, s10
	s_delay_alu instid0(VALU_DEP_1) | instskip(NEXT) | instid1(VALU_DEP_1)
	v_dual_add_nc_u32 v11, 1, v2 :: v_dual_sub_nc_u32 v3, v8, v3
	v_subrev_nc_u32_e32 v12, s10, v3
	v_cmp_le_u32_e32 vcc_lo, s10, v3
	s_delay_alu instid0(VALU_DEP_2) | instskip(NEXT) | instid1(VALU_DEP_1)
	v_dual_cndmask_b32 v3, v3, v12 :: v_dual_cndmask_b32 v2, v2, v11
	v_cmp_le_u32_e32 vcc_lo, s10, v3
	s_delay_alu instid0(VALU_DEP_2) | instskip(NEXT) | instid1(VALU_DEP_1)
	v_dual_add_nc_u32 v11, 1, v2 :: v_dual_mov_b32 v3, 0
	v_cndmask_b32_e32 v2, v2, v11, vcc_lo
.LBB6_13:
	s_or_b32 exec_lo, exec_lo, s2
	s_load_b512 s[36:51], s[0:1], 0x40
                                        ; implicit-def: $vgpr12_vgpr13
	s_mov_b32 s2, exec_lo
	v_mov_b32_e32 v14, 0
	s_wait_kmcnt 0x0
	s_mul_u64 s[8:9], s[42:43], s[40:41]
	s_delay_alu instid0(SALU_CYCLE_1) | instskip(NEXT) | instid1(SALU_CYCLE_1)
	s_mul_u64 s[12:13], s[8:9], s[44:45]
	v_or_b32_e32 v15, s13, v7
	s_delay_alu instid0(VALU_DEP_1)
	v_cmpx_ne_u64_e32 0, v[14:15]
	s_xor_b32 s3, exec_lo, s2
	s_cbranch_execz .LBB6_15
; %bb.14:
	s_ashr_i32 s14, s13, 31
	s_mov_b32 s29, 0
	s_mov_b32 s15, s14
	v_dual_mov_b32 v11, v10 :: v_dual_mov_b32 v17, v14
	s_add_nc_u64 s[20:21], s[12:13], s[14:15]
	v_mov_b32_e32 v15, v14
	s_xor_b64 s[20:21], s[20:21], s[14:15]
	s_delay_alu instid0(VALU_DEP_2) | instskip(SKIP_4) | instid1(SALU_CYCLE_1)
	v_add_nc_u64_e32 v[12:13], v[6:7], v[10:11]
	s_cvt_f32_u32 s2, s20
	s_cvt_f32_u32 s15, s21
	s_sub_nc_u64 s[24:25], 0, s[20:21]
	v_dual_mov_b32 v19, v14 :: v_dual_mov_b32 v25, v14
	s_fmamk_f32 s2, s15, 0x4f800000, s2
	s_delay_alu instid0(VALU_DEP_2) | instskip(SKIP_3) | instid1(TRANS32_DEP_1)
	v_xor_b32_e32 v16, v12, v10
	v_xor_b32_e32 v18, v13, v10
	;; [unrolled: 1-line block ×3, first 2 shown]
	v_s_rcp_f32 s2, s2
	s_mul_f32 s2, s2, 0x5f7ffffc
	s_delay_alu instid0(SALU_CYCLE_3) | instskip(NEXT) | instid1(SALU_CYCLE_3)
	s_mul_f32 s15, s2, 0x2f800000
	s_trunc_f32 s15, s15
	s_delay_alu instid0(SALU_CYCLE_3) | instskip(SKIP_1) | instid1(SALU_CYCLE_2)
	s_fmamk_f32 s2, s15, 0xcf800000, s2
	s_cvt_u32_f32 s23, s15
	s_cvt_u32_f32 s22, s2
	s_delay_alu instid0(SALU_CYCLE_3) | instskip(NEXT) | instid1(SALU_CYCLE_1)
	s_mul_u64 s[26:27], s[24:25], s[22:23]
	s_mul_hi_u32 s31, s22, s27
	s_mul_i32 s30, s22, s27
	s_mul_hi_u32 s28, s22, s26
	s_mul_i32 s15, s23, s26
	s_add_nc_u64 s[30:31], s[28:29], s[30:31]
	s_mul_hi_u32 s2, s23, s26
	s_mul_hi_u32 s33, s23, s27
	s_add_co_u32 s15, s30, s15
	s_add_co_ci_u32 s28, s31, s2
	s_mul_i32 s26, s23, s27
	s_add_co_ci_u32 s27, s33, 0
	s_delay_alu instid0(SALU_CYCLE_1) | instskip(NEXT) | instid1(SALU_CYCLE_1)
	s_add_nc_u64 s[26:27], s[28:29], s[26:27]
	s_add_co_u32 s22, s22, s26
	s_cselect_b32 s2, -1, 0
	s_delay_alu instid0(SALU_CYCLE_1) | instskip(SKIP_1) | instid1(SALU_CYCLE_1)
	s_cmp_lg_u32 s2, 0
	s_add_co_ci_u32 s23, s23, s27
	s_mul_u64 s[24:25], s[24:25], s[22:23]
	s_delay_alu instid0(SALU_CYCLE_1)
	s_mul_hi_u32 s27, s22, s25
	s_mul_i32 s26, s22, s25
	s_mul_hi_u32 s28, s22, s24
	s_mul_i32 s15, s23, s24
	s_add_nc_u64 s[26:27], s[28:29], s[26:27]
	s_mul_hi_u32 s2, s23, s24
	s_mul_hi_u32 s30, s23, s25
	s_add_co_u32 s15, s26, s15
	s_add_co_ci_u32 s28, s27, s2
	s_mul_i32 s24, s23, s25
	s_add_co_ci_u32 s25, s30, 0
	s_delay_alu instid0(SALU_CYCLE_1) | instskip(NEXT) | instid1(SALU_CYCLE_1)
	s_add_nc_u64 s[24:25], s[28:29], s[24:25]
	s_add_co_u32 s2, s22, s24
	s_cselect_b32 s15, -1, 0
	v_nop
	v_mul_hi_u32 v24, v16, s2
	s_cmp_lg_u32 s15, 0
	s_add_co_ci_u32 s28, s23, s25
	s_mov_b64 s[22:23], 0xffffffff
	v_mul_u64_e32 v[20:21], s[28:29], v[16:17]
	s_and_b64 s[22:23], s[2:3], s[22:23]
	v_mul_u64_e32 v[22:23], s[28:29], v[18:19]
	v_mul_u64_e32 v[12:13], s[22:23], v[18:19]
	s_delay_alu instid0(VALU_DEP_3) | instskip(NEXT) | instid1(VALU_DEP_1)
	v_add_nc_u64_e32 v[20:21], v[24:25], v[20:21]
	v_add_co_u32 v11, vcc_lo, v20, v12
	s_delay_alu instid0(VALU_DEP_2) | instskip(SKIP_1) | instid1(VALU_DEP_1)
	v_add_co_ci_u32_e32 v14, vcc_lo, v21, v13, vcc_lo
	v_add_co_ci_u32_e32 v23, vcc_lo, 0, v23, vcc_lo
	v_add_nc_u64_e32 v[12:13], v[14:15], v[22:23]
	s_delay_alu instid0(VALU_DEP_1) | instskip(NEXT) | instid1(VALU_DEP_1)
	v_mul_u64_e32 v[14:15], s[20:21], v[12:13]
	v_sub_nc_u32_e32 v11, v18, v15
	s_delay_alu instid0(VALU_DEP_2) | instskip(NEXT) | instid1(VALU_DEP_1)
	v_sub_co_u32 v14, vcc_lo, v16, v14
	v_sub_co_ci_u32_e64 v18, null, v18, v15, vcc_lo
	s_delay_alu instid0(VALU_DEP_3) | instskip(NEXT) | instid1(VALU_DEP_3)
	v_subrev_co_ci_u32_e64 v11, null, s21, v11, vcc_lo
	v_sub_co_u32 v16, s2, v14, s20
	s_delay_alu instid0(VALU_DEP_1) | instskip(NEXT) | instid1(VALU_DEP_2)
	v_subrev_co_ci_u32_e64 v11, null, 0, v11, s2
	v_cmp_le_u32_e32 vcc_lo, s20, v16
	v_cndmask_b32_e64 v15, 0, -1, vcc_lo
	s_delay_alu instid0(VALU_DEP_3)
	v_cmp_le_u32_e32 vcc_lo, s21, v11
	v_cndmask_b32_e64 v16, 0, -1, vcc_lo
	v_cmp_le_u32_e32 vcc_lo, s20, v14
	v_cndmask_b32_e64 v19, 0, -1, vcc_lo
	;; [unrolled: 2-line block ×3, first 2 shown]
	v_cmp_eq_u32_e32 vcc_lo, s21, v11
	v_cndmask_b32_e32 v11, v16, v15, vcc_lo
	v_cmp_eq_u32_e32 vcc_lo, s21, v18
	v_add_nc_u64_e32 v[14:15], 2, v[12:13]
	v_add_nc_u64_e32 v[16:17], 1, v[12:13]
	v_cndmask_b32_e32 v18, v20, v19, vcc_lo
	v_cmp_ne_u32_e32 vcc_lo, 0, v11
	s_delay_alu instid0(VALU_DEP_2) | instskip(NEXT) | instid1(VALU_DEP_4)
	v_cmp_ne_u32_e64 s2, 0, v18
	v_dual_cndmask_b32 v14, v16, v14 :: v_dual_cndmask_b32 v11, v17, v15
	s_delay_alu instid0(VALU_DEP_1) | instskip(NEXT) | instid1(VALU_DEP_1)
	v_dual_cndmask_b32 v12, v12, v14, s2 :: v_dual_cndmask_b32 v13, v13, v11, s2
	v_dual_mov_b32 v11, v10 :: v_dual_bitop2_b32 v12, v12, v10 bitop3:0x14
	s_delay_alu instid0(VALU_DEP_2) | instskip(NEXT) | instid1(VALU_DEP_1)
	v_xor_b32_e32 v13, v13, v10
	v_sub_nc_u64_e32 v[12:13], v[12:13], v[10:11]
.LBB6_15:
	s_and_not1_saveexec_b32 s2, s3
	s_cbranch_execz .LBB6_17
; %bb.16:
	v_cvt_f32_u32_e32 v10, s12
	s_sub_co_i32 s3, 0, s12
	s_delay_alu instid0(VALU_DEP_1) | instskip(SKIP_1) | instid1(TRANS32_DEP_1)
	v_rcp_iflag_f32_e32 v10, v10
	v_nop
	v_mul_f32_e32 v10, 0x4f7ffffe, v10
	s_delay_alu instid0(VALU_DEP_1) | instskip(NEXT) | instid1(VALU_DEP_1)
	v_cvt_u32_f32_e32 v10, v10
	v_mul_lo_u32 v11, s3, v10
	s_delay_alu instid0(VALU_DEP_1) | instskip(NEXT) | instid1(VALU_DEP_1)
	v_mul_hi_u32 v11, v10, v11
	v_add_nc_u32_e32 v10, v10, v11
	s_delay_alu instid0(VALU_DEP_1) | instskip(NEXT) | instid1(VALU_DEP_1)
	v_mul_hi_u32 v10, v6, v10
	v_mul_lo_u32 v11, v10, s12
	s_delay_alu instid0(VALU_DEP_1) | instskip(NEXT) | instid1(VALU_DEP_1)
	v_dual_add_nc_u32 v12, 1, v10 :: v_dual_sub_nc_u32 v11, v6, v11
	v_subrev_nc_u32_e32 v13, s12, v11
	v_cmp_le_u32_e32 vcc_lo, s12, v11
	s_delay_alu instid0(VALU_DEP_2) | instskip(NEXT) | instid1(VALU_DEP_4)
	v_dual_cndmask_b32 v11, v11, v13, vcc_lo :: v_dual_mov_b32 v13, 0
	v_cndmask_b32_e32 v10, v10, v12, vcc_lo
	s_delay_alu instid0(VALU_DEP_2) | instskip(NEXT) | instid1(VALU_DEP_2)
	v_cmp_le_u32_e32 vcc_lo, s12, v11
	v_add_nc_u32_e32 v12, 1, v10
	s_delay_alu instid0(VALU_DEP_1)
	v_cndmask_b32_e32 v12, v10, v12, vcc_lo
.LBB6_17:
	s_or_b32 exec_lo, exec_lo, s2
	s_delay_alu instid0(VALU_DEP_1) | instskip(SKIP_2) | instid1(VALU_DEP_2)
	v_mul_u64_e32 v[10:11], s[12:13], v[12:13]
	s_mov_b32 s2, exec_lo
	v_mov_b32_e32 v14, 0
	v_sub_nc_u64_e32 v[10:11], v[6:7], v[10:11]
                                        ; implicit-def: $vgpr6_vgpr7
	s_delay_alu instid0(VALU_DEP_1) | instskip(NEXT) | instid1(VALU_DEP_1)
	v_or_b32_e32 v15, s9, v11
	v_cmpx_ne_u64_e32 0, v[14:15]
	s_xor_b32 s3, exec_lo, s2
	s_cbranch_execz .LBB6_19
; %bb.18:
	s_ashr_i32 s12, s9, 31
	s_mov_b32 s27, 0
	s_mov_b32 s13, s12
	v_dual_mov_b32 v19, v14 :: v_dual_ashrrev_i32 v6, 31, v11
	s_add_nc_u64 s[14:15], s[8:9], s[12:13]
	v_dual_mov_b32 v27, v14 :: v_dual_mov_b32 v15, v14
	s_xor_b64 s[14:15], s[14:15], s[12:13]
	s_delay_alu instid0(VALU_DEP_2) | instskip(SKIP_3) | instid1(VALU_DEP_1)
	v_mov_b32_e32 v7, v6
	s_cvt_f32_u32 s2, s14
	s_cvt_f32_u32 s13, s15
	s_sub_nc_u64 s[22:23], 0, s[14:15]
	v_add_nc_u64_e32 v[16:17], v[10:11], v[6:7]
	s_delay_alu instid0(SALU_CYCLE_1) | instskip(SKIP_1) | instid1(SALU_CYCLE_2)
	s_fmamk_f32 s2, s13, 0x4f800000, s2
	v_mov_b32_e32 v21, v14
	v_s_rcp_f32 s2, s2
	s_delay_alu instid0(VALU_DEP_2) | instskip(NEXT) | instid1(VALU_DEP_3)
	v_xor_b32_e32 v18, v16, v6
	v_xor_b32_e32 v20, v17, v6
	;; [unrolled: 1-line block ×3, first 2 shown]
	s_delay_alu instid0(TRANS32_DEP_1) | instskip(NEXT) | instid1(SALU_CYCLE_3)
	s_mul_f32 s2, s2, 0x5f7ffffc
	s_mul_f32 s13, s2, 0x2f800000
	s_delay_alu instid0(SALU_CYCLE_3) | instskip(NEXT) | instid1(SALU_CYCLE_3)
	s_trunc_f32 s13, s13
	s_fmamk_f32 s2, s13, 0xcf800000, s2
	s_cvt_u32_f32 s21, s13
	s_delay_alu instid0(SALU_CYCLE_2) | instskip(NEXT) | instid1(SALU_CYCLE_3)
	s_cvt_u32_f32 s20, s2
	s_mul_u64 s[24:25], s[22:23], s[20:21]
	s_delay_alu instid0(SALU_CYCLE_1)
	s_mul_hi_u32 s29, s20, s25
	s_mul_i32 s28, s20, s25
	s_mul_hi_u32 s26, s20, s24
	s_mul_i32 s13, s21, s24
	s_add_nc_u64 s[28:29], s[26:27], s[28:29]
	s_mul_hi_u32 s2, s21, s24
	s_mul_hi_u32 s30, s21, s25
	s_add_co_u32 s13, s28, s13
	s_add_co_ci_u32 s26, s29, s2
	s_mul_i32 s24, s21, s25
	s_add_co_ci_u32 s25, s30, 0
	s_delay_alu instid0(SALU_CYCLE_1) | instskip(NEXT) | instid1(SALU_CYCLE_1)
	s_add_nc_u64 s[24:25], s[26:27], s[24:25]
	s_add_co_u32 s20, s20, s24
	s_cselect_b32 s2, -1, 0
	s_delay_alu instid0(SALU_CYCLE_1) | instskip(SKIP_1) | instid1(SALU_CYCLE_1)
	s_cmp_lg_u32 s2, 0
	s_add_co_ci_u32 s21, s21, s25
	s_mul_u64 s[22:23], s[22:23], s[20:21]
	s_delay_alu instid0(SALU_CYCLE_1)
	s_mul_hi_u32 s25, s20, s23
	s_mul_i32 s24, s20, s23
	s_mul_hi_u32 s26, s20, s22
	s_mul_i32 s13, s21, s22
	s_add_nc_u64 s[24:25], s[26:27], s[24:25]
	s_mul_hi_u32 s2, s21, s22
	s_mul_hi_u32 s28, s21, s23
	s_add_co_u32 s13, s24, s13
	s_add_co_ci_u32 s26, s25, s2
	s_mul_i32 s22, s21, s23
	s_add_co_ci_u32 s23, s28, 0
	s_delay_alu instid0(SALU_CYCLE_1) | instskip(NEXT) | instid1(SALU_CYCLE_1)
	s_add_nc_u64 s[22:23], s[26:27], s[22:23]
	s_add_co_u32 s2, s20, s22
	s_cselect_b32 s13, -1, 0
	v_mul_hi_u32 v26, v18, s2
	s_cmp_lg_u32 s13, 0
	s_add_co_ci_u32 s26, s21, s23
	s_mov_b64 s[20:21], 0xffffffff
	v_mul_u64_e32 v[22:23], s[26:27], v[18:19]
	s_and_b64 s[20:21], s[2:3], s[20:21]
	v_mul_u64_e32 v[24:25], s[26:27], v[20:21]
	v_mul_u64_e32 v[16:17], s[20:21], v[20:21]
	s_delay_alu instid0(VALU_DEP_3) | instskip(NEXT) | instid1(VALU_DEP_1)
	v_add_nc_u64_e32 v[22:23], v[26:27], v[22:23]
	v_add_co_u32 v7, vcc_lo, v22, v16
	s_delay_alu instid0(VALU_DEP_2) | instskip(SKIP_1) | instid1(VALU_DEP_1)
	v_add_co_ci_u32_e32 v14, vcc_lo, v23, v17, vcc_lo
	v_add_co_ci_u32_e32 v25, vcc_lo, 0, v25, vcc_lo
	v_add_nc_u64_e32 v[14:15], v[14:15], v[24:25]
	s_delay_alu instid0(VALU_DEP_1) | instskip(NEXT) | instid1(VALU_DEP_1)
	v_mul_u64_e32 v[16:17], s[14:15], v[14:15]
	v_sub_nc_u32_e32 v7, v20, v17
	s_delay_alu instid0(VALU_DEP_2) | instskip(NEXT) | instid1(VALU_DEP_1)
	v_sub_co_u32 v16, vcc_lo, v18, v16
	v_sub_co_ci_u32_e64 v20, null, v20, v17, vcc_lo
	s_delay_alu instid0(VALU_DEP_3) | instskip(NEXT) | instid1(VALU_DEP_3)
	v_subrev_co_ci_u32_e64 v7, null, s15, v7, vcc_lo
	v_sub_co_u32 v18, s2, v16, s14
	s_delay_alu instid0(VALU_DEP_1) | instskip(NEXT) | instid1(VALU_DEP_2)
	v_subrev_co_ci_u32_e64 v7, null, 0, v7, s2
	v_cmp_le_u32_e32 vcc_lo, s14, v18
	v_cndmask_b32_e64 v17, 0, -1, vcc_lo
	s_delay_alu instid0(VALU_DEP_3)
	v_cmp_le_u32_e32 vcc_lo, s15, v7
	v_cndmask_b32_e64 v18, 0, -1, vcc_lo
	v_cmp_le_u32_e32 vcc_lo, s14, v16
	v_cndmask_b32_e64 v21, 0, -1, vcc_lo
	;; [unrolled: 2-line block ×3, first 2 shown]
	v_cmp_eq_u32_e32 vcc_lo, s15, v7
	v_cndmask_b32_e32 v7, v18, v17, vcc_lo
	v_cmp_eq_u32_e32 vcc_lo, s15, v20
	v_add_nc_u64_e32 v[16:17], 2, v[14:15]
	v_add_nc_u64_e32 v[18:19], 1, v[14:15]
	v_cndmask_b32_e32 v20, v22, v21, vcc_lo
	v_cmp_ne_u32_e32 vcc_lo, 0, v7
	s_delay_alu instid0(VALU_DEP_2) | instskip(NEXT) | instid1(VALU_DEP_4)
	v_cmp_ne_u32_e64 s2, 0, v20
	v_dual_cndmask_b32 v16, v18, v16 :: v_dual_cndmask_b32 v7, v19, v17
	s_delay_alu instid0(VALU_DEP_1) | instskip(SKIP_1) | instid1(VALU_DEP_2)
	v_dual_cndmask_b32 v14, v14, v16, s2 :: v_dual_cndmask_b32 v15, v15, v7, s2
	v_mov_b32_e32 v7, v6
	v_xor_b32_e32 v14, v14, v6
	s_delay_alu instid0(VALU_DEP_3) | instskip(NEXT) | instid1(VALU_DEP_1)
	v_xor_b32_e32 v15, v15, v6
	v_sub_nc_u64_e32 v[6:7], v[14:15], v[6:7]
.LBB6_19:
	s_and_not1_saveexec_b32 s2, s3
	s_cbranch_execz .LBB6_21
; %bb.20:
	v_cvt_f32_u32_e32 v6, s8
	s_sub_co_i32 s3, 0, s8
	s_delay_alu instid0(VALU_DEP_1) | instskip(SKIP_1) | instid1(TRANS32_DEP_1)
	v_rcp_iflag_f32_e32 v6, v6
	v_nop
	v_mul_f32_e32 v6, 0x4f7ffffe, v6
	s_delay_alu instid0(VALU_DEP_1) | instskip(NEXT) | instid1(VALU_DEP_1)
	v_cvt_u32_f32_e32 v6, v6
	v_mul_lo_u32 v7, s3, v6
	s_delay_alu instid0(VALU_DEP_1) | instskip(NEXT) | instid1(VALU_DEP_1)
	v_mul_hi_u32 v7, v6, v7
	v_add_nc_u32_e32 v6, v6, v7
	s_delay_alu instid0(VALU_DEP_1) | instskip(NEXT) | instid1(VALU_DEP_1)
	v_mul_hi_u32 v6, v10, v6
	v_mul_lo_u32 v7, v6, s8
	s_delay_alu instid0(VALU_DEP_1) | instskip(NEXT) | instid1(VALU_DEP_1)
	v_sub_nc_u32_e32 v7, v10, v7
	v_subrev_nc_u32_e32 v15, s8, v7
	v_cmp_le_u32_e32 vcc_lo, s8, v7
	s_delay_alu instid0(VALU_DEP_2) | instskip(NEXT) | instid1(VALU_DEP_1)
	v_dual_cndmask_b32 v7, v7, v15 :: v_dual_add_nc_u32 v14, 1, v6
	v_cndmask_b32_e32 v6, v6, v14, vcc_lo
	s_delay_alu instid0(VALU_DEP_2) | instskip(NEXT) | instid1(VALU_DEP_2)
	v_cmp_le_u32_e32 vcc_lo, s8, v7
	v_dual_mov_b32 v7, 0 :: v_dual_add_nc_u32 v14, 1, v6
	s_delay_alu instid0(VALU_DEP_1)
	v_cndmask_b32_e32 v6, v6, v14, vcc_lo
.LBB6_21:
	s_or_b32 exec_lo, exec_lo, s2
	s_delay_alu instid0(VALU_DEP_1) | instskip(SKIP_2) | instid1(VALU_DEP_2)
	v_mul_u64_e32 v[14:15], s[8:9], v[6:7]
	s_mov_b32 s2, exec_lo
	v_mov_b32_e32 v16, 0
	v_sub_nc_u64_e32 v[10:11], v[10:11], v[14:15]
                                        ; implicit-def: $vgpr14_vgpr15
	s_delay_alu instid0(VALU_DEP_1) | instskip(NEXT) | instid1(VALU_DEP_1)
	v_or_b32_e32 v17, s41, v11
	v_cmpx_ne_u64_e32 0, v[16:17]
	s_xor_b32 s3, exec_lo, s2
	s_cbranch_execz .LBB6_23
; %bb.22:
	s_ashr_i32 s8, s41, 31
	s_mov_b32 s25, 0
	s_mov_b32 s9, s8
	v_dual_mov_b32 v21, v16 :: v_dual_ashrrev_i32 v14, 31, v11
	s_add_nc_u64 s[12:13], s[40:41], s[8:9]
	v_mov_b32_e32 v23, v16
	s_xor_b64 s[12:13], s[12:13], s[8:9]
	s_delay_alu instid0(VALU_DEP_2)
	v_mov_b32_e32 v15, v14
	s_cvt_f32_u32 s2, s12
	s_cvt_f32_u32 s9, s13
	s_sub_nc_u64 s[20:21], 0, s[12:13]
	v_mov_b32_e32 v29, v16
	v_add_nc_u64_e32 v[18:19], v[10:11], v[14:15]
	s_fmamk_f32 s2, s9, 0x4f800000, s2
	v_mov_b32_e32 v17, v16
	s_delay_alu instid0(SALU_CYCLE_2) | instskip(NEXT) | instid1(VALU_DEP_2)
	v_s_rcp_f32 s2, s2
	v_xor_b32_e32 v20, v18, v14
	s_delay_alu instid0(VALU_DEP_3) | instskip(SKIP_1) | instid1(TRANS32_DEP_1)
	v_xor_b32_e32 v22, v19, v14
	v_xor_b32_e32 v14, s8, v14
	s_mul_f32 s2, s2, 0x5f7ffffc
	s_delay_alu instid0(SALU_CYCLE_3) | instskip(NEXT) | instid1(SALU_CYCLE_3)
	s_mul_f32 s9, s2, 0x2f800000
	s_trunc_f32 s9, s9
	s_delay_alu instid0(SALU_CYCLE_3) | instskip(SKIP_1) | instid1(SALU_CYCLE_2)
	s_fmamk_f32 s2, s9, 0xcf800000, s2
	s_cvt_u32_f32 s15, s9
	s_cvt_u32_f32 s14, s2
	s_delay_alu instid0(SALU_CYCLE_3) | instskip(NEXT) | instid1(SALU_CYCLE_1)
	s_mul_u64 s[22:23], s[20:21], s[14:15]
	s_mul_hi_u32 s27, s14, s23
	s_mul_i32 s26, s14, s23
	s_mul_hi_u32 s24, s14, s22
	s_mul_i32 s9, s15, s22
	s_add_nc_u64 s[26:27], s[24:25], s[26:27]
	s_mul_hi_u32 s2, s15, s22
	s_mul_hi_u32 s28, s15, s23
	s_add_co_u32 s9, s26, s9
	s_add_co_ci_u32 s24, s27, s2
	s_mul_i32 s22, s15, s23
	s_add_co_ci_u32 s23, s28, 0
	s_delay_alu instid0(SALU_CYCLE_1) | instskip(NEXT) | instid1(SALU_CYCLE_1)
	s_add_nc_u64 s[22:23], s[24:25], s[22:23]
	s_add_co_u32 s14, s14, s22
	s_cselect_b32 s2, -1, 0
	s_delay_alu instid0(SALU_CYCLE_1) | instskip(SKIP_1) | instid1(SALU_CYCLE_1)
	s_cmp_lg_u32 s2, 0
	s_add_co_ci_u32 s15, s15, s23
	s_mul_u64 s[20:21], s[20:21], s[14:15]
	s_delay_alu instid0(SALU_CYCLE_1)
	s_mul_hi_u32 s23, s14, s21
	s_mul_i32 s22, s14, s21
	s_mul_hi_u32 s24, s14, s20
	s_mul_i32 s9, s15, s20
	s_add_nc_u64 s[22:23], s[24:25], s[22:23]
	s_mul_hi_u32 s2, s15, s20
	s_mul_hi_u32 s26, s15, s21
	s_add_co_u32 s9, s22, s9
	s_add_co_ci_u32 s24, s23, s2
	s_mul_i32 s20, s15, s21
	s_add_co_ci_u32 s21, s26, 0
	s_delay_alu instid0(SALU_CYCLE_1) | instskip(NEXT) | instid1(SALU_CYCLE_1)
	s_add_nc_u64 s[20:21], s[24:25], s[20:21]
	s_add_co_u32 s2, s14, s20
	s_cselect_b32 s9, -1, 0
	v_mul_hi_u32 v28, v20, s2
	s_cmp_lg_u32 s9, 0
	s_add_co_ci_u32 s24, s15, s21
	s_mov_b64 s[14:15], 0xffffffff
	v_mul_u64_e32 v[24:25], s[24:25], v[20:21]
	s_and_b64 s[14:15], s[2:3], s[14:15]
	v_mul_u64_e32 v[26:27], s[24:25], v[22:23]
	v_mul_u64_e32 v[18:19], s[14:15], v[22:23]
	s_delay_alu instid0(VALU_DEP_3) | instskip(NEXT) | instid1(VALU_DEP_1)
	v_add_nc_u64_e32 v[24:25], v[28:29], v[24:25]
	v_add_co_u32 v15, vcc_lo, v24, v18
	s_delay_alu instid0(VALU_DEP_2) | instskip(SKIP_1) | instid1(VALU_DEP_1)
	v_add_co_ci_u32_e32 v16, vcc_lo, v25, v19, vcc_lo
	v_add_co_ci_u32_e32 v27, vcc_lo, 0, v27, vcc_lo
	v_add_nc_u64_e32 v[16:17], v[16:17], v[26:27]
	s_delay_alu instid0(VALU_DEP_1) | instskip(NEXT) | instid1(VALU_DEP_1)
	v_mul_u64_e32 v[18:19], s[12:13], v[16:17]
	v_sub_nc_u32_e32 v15, v22, v19
	s_delay_alu instid0(VALU_DEP_2) | instskip(NEXT) | instid1(VALU_DEP_1)
	v_sub_co_u32 v18, vcc_lo, v20, v18
	v_sub_co_ci_u32_e64 v22, null, v22, v19, vcc_lo
	s_delay_alu instid0(VALU_DEP_3) | instskip(NEXT) | instid1(VALU_DEP_3)
	v_subrev_co_ci_u32_e64 v15, null, s13, v15, vcc_lo
	v_sub_co_u32 v20, s2, v18, s12
	s_delay_alu instid0(VALU_DEP_1) | instskip(NEXT) | instid1(VALU_DEP_2)
	v_subrev_co_ci_u32_e64 v15, null, 0, v15, s2
	v_cmp_le_u32_e32 vcc_lo, s12, v20
	v_cndmask_b32_e64 v19, 0, -1, vcc_lo
	s_delay_alu instid0(VALU_DEP_3)
	v_cmp_le_u32_e32 vcc_lo, s13, v15
	v_cndmask_b32_e64 v20, 0, -1, vcc_lo
	v_cmp_le_u32_e32 vcc_lo, s12, v18
	v_cndmask_b32_e64 v23, 0, -1, vcc_lo
	;; [unrolled: 2-line block ×3, first 2 shown]
	v_cmp_eq_u32_e32 vcc_lo, s13, v15
	v_cndmask_b32_e32 v15, v20, v19, vcc_lo
	v_cmp_eq_u32_e32 vcc_lo, s13, v22
	v_add_nc_u64_e32 v[18:19], 2, v[16:17]
	v_add_nc_u64_e32 v[20:21], 1, v[16:17]
	v_cndmask_b32_e32 v22, v24, v23, vcc_lo
	v_cmp_ne_u32_e32 vcc_lo, 0, v15
	s_delay_alu instid0(VALU_DEP_2) | instskip(NEXT) | instid1(VALU_DEP_4)
	v_cmp_ne_u32_e64 s2, 0, v22
	v_dual_cndmask_b32 v18, v20, v18 :: v_dual_cndmask_b32 v15, v21, v19
	s_delay_alu instid0(VALU_DEP_1) | instskip(NEXT) | instid1(VALU_DEP_1)
	v_dual_cndmask_b32 v16, v16, v18, s2 :: v_dual_cndmask_b32 v17, v17, v15, s2
	v_dual_mov_b32 v15, v14 :: v_dual_bitop2_b32 v16, v16, v14 bitop3:0x14
	s_delay_alu instid0(VALU_DEP_2) | instskip(NEXT) | instid1(VALU_DEP_1)
	v_xor_b32_e32 v17, v17, v14
	v_sub_nc_u64_e32 v[14:15], v[16:17], v[14:15]
.LBB6_23:
	s_and_not1_saveexec_b32 s2, s3
	s_cbranch_execz .LBB6_25
; %bb.24:
	v_cvt_f32_u32_e32 v14, s40
	s_sub_co_i32 s3, 0, s40
	s_delay_alu instid0(VALU_DEP_1) | instskip(SKIP_1) | instid1(TRANS32_DEP_1)
	v_rcp_iflag_f32_e32 v14, v14
	v_nop
	v_mul_f32_e32 v14, 0x4f7ffffe, v14
	s_delay_alu instid0(VALU_DEP_1) | instskip(NEXT) | instid1(VALU_DEP_1)
	v_cvt_u32_f32_e32 v14, v14
	v_mul_lo_u32 v15, s3, v14
	s_delay_alu instid0(VALU_DEP_1) | instskip(NEXT) | instid1(VALU_DEP_1)
	v_mul_hi_u32 v15, v14, v15
	v_add_nc_u32_e32 v14, v14, v15
	s_delay_alu instid0(VALU_DEP_1) | instskip(NEXT) | instid1(VALU_DEP_1)
	v_mul_hi_u32 v14, v10, v14
	v_mul_lo_u32 v15, v14, s40
	s_delay_alu instid0(VALU_DEP_1) | instskip(NEXT) | instid1(VALU_DEP_1)
	v_dual_add_nc_u32 v16, 1, v14 :: v_dual_sub_nc_u32 v15, v10, v15
	v_subrev_nc_u32_e32 v17, s40, v15
	v_cmp_le_u32_e32 vcc_lo, s40, v15
	s_delay_alu instid0(VALU_DEP_2) | instskip(NEXT) | instid1(VALU_DEP_1)
	v_dual_cndmask_b32 v15, v15, v17 :: v_dual_cndmask_b32 v14, v14, v16
	v_cmp_le_u32_e32 vcc_lo, s40, v15
	s_delay_alu instid0(VALU_DEP_2) | instskip(NEXT) | instid1(VALU_DEP_1)
	v_dual_mov_b32 v15, 0 :: v_dual_add_nc_u32 v16, 1, v14
	v_cndmask_b32_e32 v14, v14, v16, vcc_lo
.LBB6_25:
	s_or_b32 exec_lo, exec_lo, s2
	v_mul_u64_e32 v[16:17], s[10:11], v[2:3]
	v_mul_lo_u32 v19, v2, s19
	v_mul_lo_u32 v52, v3, s18
	;; [unrolled: 1-line block ×4, first 2 shown]
	s_load_b64 s[0:1], s[0:1], 0x80
	s_mov_b64 s[2:3], 0
	s_wait_kmcnt 0x0
	v_mul_lo_u32 v13, v13, s0
	v_sub_nc_u64_e32 v[8:9], v[8:9], v[16:17]
	v_mul_u64_e32 v[16:17], s[36:37], v[4:5]
	s_delay_alu instid0(VALU_DEP_2) | instskip(SKIP_1) | instid1(VALU_DEP_4)
	v_mad_nc_u64_u32 v[4:5], v8, s16, s[4:5]
	v_mul_lo_u32 v18, v8, s17
	v_mul_lo_u32 v9, v9, s16
	s_delay_alu instid0(VALU_DEP_1) | instskip(NEXT) | instid1(VALU_DEP_1)
	v_add3_u32 v5, v9, v5, v18
	v_mad_nc_u64_u32 v[4:5], v2, s18, v[4:5]
	s_delay_alu instid0(VALU_DEP_1) | instskip(NEXT) | instid1(VALU_DEP_1)
	v_add3_u32 v5, v52, v5, v19
	v_add_nc_u64_e32 v[4:5], v[4:5], v[16:17]
	s_delay_alu instid0(VALU_DEP_1) | instskip(NEXT) | instid1(VALU_DEP_1)
	v_mad_nc_u64_u32 v[4:5], v0, s38, v[4:5]
	v_add3_u32 v5, v53, v5, v3
	s_clause 0x7
	global_load_b128 v[20:23], v[4:5], off
	global_load_b128 v[24:27], v[4:5], off offset:16
	global_load_b128 v[28:31], v[4:5], off offset:32
	;; [unrolled: 1-line block ×7, first 2 shown]
	s_wait_loadcnt 0x7
	v_cmp_lg_f32_e32 vcc_lo, 0, v20
	v_cndmask_b32_e32 v1, 0, v20, vcc_lo
	v_cndmask_b32_e64 v20, 0, |v20|, vcc_lo
	s_delay_alu instid0(VALU_DEP_1) | instskip(NEXT) | instid1(VALU_DEP_1)
	v_cmp_lt_f32_e64 vcc_lo, v20, |v21|
	v_cndmask_b32_e64 v20, v20, |v21|, vcc_lo
	s_delay_alu instid0(VALU_DEP_4) | instskip(NEXT) | instid1(VALU_DEP_2)
	v_cndmask_b32_e32 v1, v1, v21, vcc_lo
	v_cmp_lt_f32_e64 vcc_lo, v20, |v22|
	s_delay_alu instid0(VALU_DEP_1) | instskip(NEXT) | instid1(VALU_DEP_3)
	v_cndmask_b32_e64 v20, v20, |v22|, vcc_lo
	v_cndmask_b32_e32 v1, v1, v22, vcc_lo
	s_delay_alu instid0(VALU_DEP_2) | instskip(NEXT) | instid1(VALU_DEP_1)
	v_cmp_lt_f32_e64 vcc_lo, v20, |v23|
	v_cndmask_b32_e64 v20, v20, |v23|, vcc_lo
	s_delay_alu instid0(VALU_DEP_3) | instskip(SKIP_1) | instid1(VALU_DEP_2)
	v_cndmask_b32_e32 v1, v1, v23, vcc_lo
	s_wait_loadcnt 0x6
	v_cmp_lt_f32_e64 vcc_lo, v20, |v24|
	s_delay_alu instid0(VALU_DEP_1) | instskip(NEXT) | instid1(VALU_DEP_3)
	v_cndmask_b32_e64 v20, v20, |v24|, vcc_lo
	v_cndmask_b32_e32 v1, v1, v24, vcc_lo
	s_delay_alu instid0(VALU_DEP_2) | instskip(NEXT) | instid1(VALU_DEP_1)
	v_cmp_lt_f32_e64 vcc_lo, v20, |v25|
	v_cndmask_b32_e64 v20, v20, |v25|, vcc_lo
	s_delay_alu instid0(VALU_DEP_3) | instskip(NEXT) | instid1(VALU_DEP_2)
	v_cndmask_b32_e32 v1, v1, v25, vcc_lo
	v_cmp_lt_f32_e64 vcc_lo, v20, |v26|
	s_delay_alu instid0(VALU_DEP_1) | instskip(NEXT) | instid1(VALU_DEP_3)
	v_cndmask_b32_e64 v20, v20, |v26|, vcc_lo
	v_cndmask_b32_e32 v1, v1, v26, vcc_lo
	s_delay_alu instid0(VALU_DEP_2) | instskip(NEXT) | instid1(VALU_DEP_1)
	v_cmp_lt_f32_e64 vcc_lo, v20, |v27|
	v_cndmask_b32_e64 v20, v20, |v27|, vcc_lo
	s_delay_alu instid0(VALU_DEP_3) | instskip(SKIP_1) | instid1(VALU_DEP_2)
	v_cndmask_b32_e32 v1, v1, v27, vcc_lo
	s_wait_loadcnt 0x5
	v_cmp_lt_f32_e64 vcc_lo, v20, |v28|
	s_delay_alu instid0(VALU_DEP_1) | instskip(NEXT) | instid1(VALU_DEP_3)
	v_cndmask_b32_e64 v20, v20, |v28|, vcc_lo
	v_cndmask_b32_e32 v1, v1, v28, vcc_lo
	v_mul_lo_u32 v28, v14, s49
	s_delay_alu instid0(VALU_DEP_3) | instskip(NEXT) | instid1(VALU_DEP_1)
	v_cmp_lt_f32_e64 vcc_lo, v20, |v29|
	v_cndmask_b32_e64 v20, v20, |v29|, vcc_lo
	s_delay_alu instid0(VALU_DEP_4) | instskip(NEXT) | instid1(VALU_DEP_2)
	v_cndmask_b32_e32 v1, v1, v29, vcc_lo
	v_cmp_lt_f32_e64 vcc_lo, v20, |v30|
	s_delay_alu instid0(VALU_DEP_1) | instskip(NEXT) | instid1(VALU_DEP_3)
	v_cndmask_b32_e64 v20, v20, |v30|, vcc_lo
	v_cndmask_b32_e32 v1, v1, v30, vcc_lo
	v_mul_lo_u32 v30, v15, s48
	s_delay_alu instid0(VALU_DEP_3) | instskip(NEXT) | instid1(VALU_DEP_1)
	v_cmp_lt_f32_e64 vcc_lo, v20, |v31|
	v_cndmask_b32_e64 v20, v20, |v31|, vcc_lo
	s_delay_alu instid0(VALU_DEP_4) | instskip(SKIP_1) | instid1(VALU_DEP_2)
	v_cndmask_b32_e32 v1, v1, v31, vcc_lo
	s_wait_loadcnt 0x4
	v_cmp_lt_f32_e64 vcc_lo, v20, |v32|
	s_delay_alu instid0(VALU_DEP_1) | instskip(NEXT) | instid1(VALU_DEP_3)
	v_cndmask_b32_e64 v20, v20, |v32|, vcc_lo
	v_cndmask_b32_e32 v1, v1, v32, vcc_lo
	s_delay_alu instid0(VALU_DEP_2) | instskip(NEXT) | instid1(VALU_DEP_1)
	v_cmp_lt_f32_e64 vcc_lo, v20, |v33|
	v_cndmask_b32_e64 v20, v20, |v33|, vcc_lo
	s_delay_alu instid0(VALU_DEP_3) | instskip(NEXT) | instid1(VALU_DEP_2)
	v_cndmask_b32_e32 v1, v1, v33, vcc_lo
	v_cmp_lt_f32_e64 vcc_lo, v20, |v34|
	s_delay_alu instid0(VALU_DEP_1) | instskip(NEXT) | instid1(VALU_DEP_3)
	v_cndmask_b32_e64 v20, v20, |v34|, vcc_lo
	v_cndmask_b32_e32 v1, v1, v34, vcc_lo
	s_delay_alu instid0(VALU_DEP_2) | instskip(NEXT) | instid1(VALU_DEP_1)
	v_cmp_lt_f32_e64 vcc_lo, v20, |v35|
	v_cndmask_b32_e64 v20, v20, |v35|, vcc_lo
	s_delay_alu instid0(VALU_DEP_3) | instskip(SKIP_1) | instid1(VALU_DEP_2)
	v_cndmask_b32_e32 v1, v1, v35, vcc_lo
	s_wait_loadcnt 0x3
	v_cmp_lt_f32_e64 vcc_lo, v20, |v36|
	s_delay_alu instid0(VALU_DEP_1) | instskip(NEXT) | instid1(VALU_DEP_3)
	v_cndmask_b32_e64 v20, v20, |v36|, vcc_lo
	v_cndmask_b32_e32 v1, v1, v36, vcc_lo
	s_delay_alu instid0(VALU_DEP_2) | instskip(NEXT) | instid1(VALU_DEP_1)
	v_cmp_lt_f32_e64 vcc_lo, v20, |v37|
	v_cndmask_b32_e64 v20, v20, |v37|, vcc_lo
	s_delay_alu instid0(VALU_DEP_3) | instskip(NEXT) | instid1(VALU_DEP_2)
	v_cndmask_b32_e32 v1, v1, v37, vcc_lo
	v_cmp_lt_f32_e64 vcc_lo, v20, |v38|
	s_delay_alu instid0(VALU_DEP_1) | instskip(NEXT) | instid1(VALU_DEP_3)
	v_cndmask_b32_e64 v20, v20, |v38|, vcc_lo
	v_cndmask_b32_e32 v1, v1, v38, vcc_lo
	s_delay_alu instid0(VALU_DEP_2) | instskip(NEXT) | instid1(VALU_DEP_1)
	v_cmp_lt_f32_e64 vcc_lo, v20, |v39|
	v_cndmask_b32_e64 v20, v20, |v39|, vcc_lo
	s_delay_alu instid0(VALU_DEP_3) | instskip(SKIP_1) | instid1(VALU_DEP_2)
	;; [unrolled: 19-line block ×3, first 2 shown]
	v_cndmask_b32_e32 v1, v1, v43, vcc_lo
	s_wait_loadcnt 0x1
	v_cmp_lt_f32_e64 vcc_lo, v20, |v44|
	s_delay_alu instid0(VALU_DEP_1) | instskip(NEXT) | instid1(VALU_DEP_3)
	v_cndmask_b32_e64 v22, v20, |v44|, vcc_lo
	v_cndmask_b32_e32 v1, v1, v44, vcc_lo
	v_mul_u64_e32 v[20:21], s[40:41], v[14:15]
	s_delay_alu instid0(VALU_DEP_3) | instskip(NEXT) | instid1(VALU_DEP_1)
	v_cmp_lt_f32_e64 vcc_lo, v22, |v45|
	v_cndmask_b32_e64 v22, v22, |v45|, vcc_lo
	s_delay_alu instid0(VALU_DEP_4) | instskip(NEXT) | instid1(VALU_DEP_2)
	v_cndmask_b32_e32 v1, v1, v45, vcc_lo
	v_cmp_lt_f32_e64 vcc_lo, v22, |v46|
	s_delay_alu instid0(VALU_DEP_1) | instskip(NEXT) | instid1(VALU_DEP_3)
	v_cndmask_b32_e64 v22, v22, |v46|, vcc_lo
	v_cndmask_b32_e32 v1, v1, v46, vcc_lo
	s_delay_alu instid0(VALU_DEP_2) | instskip(NEXT) | instid1(VALU_DEP_1)
	v_cmp_lt_f32_e64 vcc_lo, v22, |v47|
	v_cndmask_b32_e64 v24, v22, |v47|, vcc_lo
	s_delay_alu instid0(VALU_DEP_3)
	v_cndmask_b32_e32 v1, v1, v47, vcc_lo
	v_mul_u64_e32 v[22:23], s[50:51], v[6:7]
	v_mov_b32_e32 v7, 0
	v_sub_nc_u64_e32 v[10:11], v[10:11], v[20:21]
	s_wait_loadcnt 0x0
	v_cmp_lt_f32_e64 vcc_lo, v24, |v48|
	s_delay_alu instid0(VALU_DEP_1) | instskip(NEXT) | instid1(VALU_DEP_3)
	v_cndmask_b32_e64 v6, v24, |v48|, vcc_lo
	v_dual_cndmask_b32 v1, v1, v48 :: v_dual_ashrrev_i32 v20, 31, v11
	v_mul_lo_u32 v24, v12, s1
	s_mov_b32 s1, 0
	s_delay_alu instid0(VALU_DEP_3) | instskip(NEXT) | instid1(VALU_DEP_1)
	v_cmp_lt_f32_e64 vcc_lo, v6, |v49|
	v_cndmask_b32_e64 v21, v6, |v49|, vcc_lo
	v_dual_cndmask_b32 v1, v1, v49 :: v_dual_lshrrev_b32 v6, 27, v20
	s_delay_alu instid0(VALU_DEP_2) | instskip(NEXT) | instid1(VALU_DEP_2)
	v_cmp_lt_f32_e64 vcc_lo, v21, |v50|
	v_add_nc_u64_e32 v[10:11], v[10:11], v[6:7]
	s_delay_alu instid0(VALU_DEP_2) | instskip(NEXT) | instid1(VALU_DEP_4)
	v_cndmask_b32_e64 v6, v21, |v50|, vcc_lo
	v_cndmask_b32_e32 v1, v1, v50, vcc_lo
	s_delay_alu instid0(VALU_DEP_3) | instskip(NEXT) | instid1(VALU_DEP_3)
	v_ashrrev_i64 v[10:11], 5, v[10:11]
	v_cmp_lt_f32_e64 vcc_lo, v6, |v51|
	s_delay_alu instid0(VALU_DEP_3)
	v_cndmask_b32_e32 v6, v1, v51, vcc_lo
	v_mad_nc_u64_u32 v[0:1], v0, s38, v[16:17]
	v_mad_nc_u64_u32 v[16:17], v12, s0, v[22:23]
	;; [unrolled: 1-line block ×3, first 2 shown]
	v_mul_lo_u32 v26, v10, s47
	v_mul_f32_e32 v25, 0xbd800000, v6
	v_mul_lo_u32 v11, v11, s46
	s_delay_alu instid0(VALU_DEP_2) | instskip(SKIP_2) | instid1(VALU_DEP_3)
	v_div_scale_f32 v27, null, v25, v25, 1.0
	v_add3_u32 v1, v53, v1, v3
	v_add3_u32 v17, v13, v17, v24
	v_rcp_f32_e32 v29, v27
	s_delay_alu instid0(VALU_DEP_2) | instskip(NEXT) | instid1(VALU_DEP_2)
	v_mad_nc_u64_u32 v[0:1], v2, s18, v[0:1]
	v_mad_nc_u64_u32 v[2:3], v14, s48, v[16:17]
	v_add3_u32 v21, v11, v21, v26
	s_delay_alu instid0(TRANS32_DEP_1) | instskip(NEXT) | instid1(VALU_DEP_2)
	v_fma_f32 v16, -v27, v29, 1.0
	v_mad_nc_u64_u32 v[14:15], v14, s48, v[20:21]
	v_div_scale_f32 v20, vcc_lo, 1.0, v25, 1.0
	s_delay_alu instid0(VALU_DEP_3) | instskip(SKIP_2) | instid1(VALU_DEP_3)
	v_fmac_f32_e32 v29, v16, v29
	v_add3_u32 v1, v52, v1, v19
	v_add3_u32 v3, v30, v3, v28
	v_mul_f32_e32 v19, v20, v29
	s_delay_alu instid0(VALU_DEP_3) | instskip(NEXT) | instid1(VALU_DEP_3)
	v_mad_nc_u64_u32 v[16:17], v8, s16, v[0:1]
	v_mad_nc_u64_u32 v[2:3], v10, s46, v[2:3]
	v_add3_u32 v15, v30, v15, v28
	s_delay_alu instid0(VALU_DEP_4) | instskip(NEXT) | instid1(VALU_DEP_2)
	v_fma_f32 v8, -v27, v19, v20
	v_add_nc_u64_e32 v[0:1], v[14:15], v[22:23]
	s_delay_alu instid0(VALU_DEP_2) | instskip(SKIP_2) | instid1(VALU_DEP_3)
	v_fmac_f32_e32 v19, v8, v29
	v_add3_u32 v17, v9, v17, v18
	v_add3_u32 v3, v11, v3, v26
	v_fma_f32 v10, -v27, v19, v20
	v_mad_nc_u64_u32 v[0:1], v12, s0, v[0:1]
	s_delay_alu instid0(VALU_DEP_4)
	v_add_nc_u64_e32 v[8:9], s[4:5], v[16:17]
	s_mov_b32 s0, 0xbd800000
	v_add_nc_u64_e32 v[2:3], s[6:7], v[2:3]
	v_div_fmas_f32 v11, v10, v29, v19
	v_cmp_neq_f32_e32 vcc_lo, 0, v25
	v_mov_b32_e32 v10, v7
	v_fma_mixlo_f16 v12, v6, s0, 0
	v_add_nc_u64_e32 v[8:9], 64, v[8:9]
	v_div_fixup_f32 v11, v11, v25, 1.0
	v_add3_u32 v1, v13, v1, v24
	s_delay_alu instid0(VALU_DEP_2)
	v_dual_cndmask_b32 v6, 0, v11 :: v_dual_mov_b32 v11, v7
	global_store_b16 v[0:1], v12, off
.LBB6_26:                               ; =>This Inner Loop Header: Depth=1
	s_or_b32 s0, s2, 17
	s_clause 0x1
	global_load_b64 v[12:13], v[8:9], off offset:-64
	global_load_b32 v16, v[8:9], off
	v_lshl_add_u64 v[14:15], s[0:1], 2, v[4:5]
	v_and_or_b32 v7, 0xffff, v7, v11
	s_add_co_i32 s5, s2, 1
	s_add_co_i32 s4, s2, 16
	v_and_b32_e32 v10, 0xff0000, v10
	global_load_b32 v14, v[14:15], off
	s_wait_xcnt 0x1
	v_add_nc_u64_e32 v[8:9], 8, v[8:9]
	s_wait_loadcnt 0x2
	v_dual_fmaak_f32 v12, v6, v12, 0x41840000 :: v_dual_fmaak_f32 v13, v6, v13, 0x41840000
	s_wait_loadcnt 0x1
	s_wait_xcnt 0x0
	v_fmaak_f32 v15, v6, v16, 0x41840000
	s_delay_alu instid0(VALU_DEP_2)
	v_cvt_i32_f32_e32 v12, v12
	v_cvt_i32_f32_e32 v16, v13
	s_wait_loadcnt 0x0
	v_fmaak_f32 v18, v6, v14, 0x41840000
	v_cvt_i32_f32_e32 v15, v15
	v_cvt_f64_i32_e32 v[12:13], v12
	v_cvt_f64_i32_e32 v[16:17], v16
	s_delay_alu instid0(VALU_DEP_4) | instskip(NEXT) | instid1(VALU_DEP_4)
	v_cvt_i32_f32_e32 v18, v18
	v_cvt_f64_i32_e32 v[14:15], v15
	s_delay_alu instid0(VALU_DEP_2) | instskip(SKIP_2) | instid1(VALU_DEP_4)
	v_cvt_f64_i32_e32 v[18:19], v18
	v_min_num_f64_e32 v[12:13], 0x403f0000, v[12:13]
	v_min_num_f64_e32 v[16:17], 0x403f0000, v[16:17]
	v_min_num_f64_e32 v[14:15], 0x403f0000, v[14:15]
	s_delay_alu instid0(VALU_DEP_4) | instskip(NEXT) | instid1(VALU_DEP_4)
	v_min_num_f64_e32 v[18:19], 0x403f0000, v[18:19]
	v_cvt_i32_f64_e32 v20, v[12:13]
	v_add_nc_u64_e32 v[12:13], s[2:3], v[2:3]
	s_delay_alu instid0(VALU_DEP_4) | instskip(SKIP_3) | instid1(VALU_DEP_4)
	v_cvt_i32_f64_e32 v14, v[14:15]
	v_cvt_i32_f64_e32 v15, v[16:17]
	;; [unrolled: 1-line block ×3, first 2 shown]
	v_lshrrev_b16 v11, 4, v20
	v_lshrrev_b16 v17, 4, v14
	v_lshlrev_b16 v14, 4, v14
	s_delay_alu instid0(VALU_DEP_4) | instskip(SKIP_1) | instid1(VALU_DEP_1)
	v_lshlrev_b16 v19, 12, v16
	v_lshrrev_b16 v16, 4, v16
	v_and_b32_e32 v16, 1, v16
	s_delay_alu instid0(VALU_DEP_1) | instskip(SKIP_1) | instid1(VALU_DEP_1)
	v_and_b32_e32 v16, 0xffff, v16
	v_and_b32_e32 v11, 1, v11
	;; [unrolled: 1-line block ×3, first 2 shown]
	s_delay_alu instid0(VALU_DEP_1) | instskip(NEXT) | instid1(VALU_DEP_1)
	v_dual_lshlrev_b32 v11, s2, v11 :: v_dual_bitop2_b32 v17, 1, v17 bitop3:0x40
	v_and_b32_e32 v17, 0xffff, v17
	v_and_b32_e32 v18, 15, v15
	v_lshrrev_b16 v15, 4, v15
	s_add_nc_u64 s[2:3], s[2:3], 2
	v_or3_b32 v7, v7, v10, v11
	v_lshlrev_b32_e32 v17, s4, v17
	v_lshlrev_b16 v18, 8, v18
	v_and_b32_e32 v15, 1, v15
	v_bitop3_b16 v10, v14, v20, 15 bitop3:0xf8
	v_lshlrev_b32_e32 v14, s0, v16
	s_cmp_lg_u32 s2, 16
	v_or_b32_e32 v11, v19, v18
	v_and_b32_e32 v15, 0xffff, v15
	s_delay_alu instid0(VALU_DEP_1) | instskip(NEXT) | instid1(VALU_DEP_1)
	v_lshlrev_b32_e32 v15, s5, v15
	v_or3_b32 v7, v7, v17, v15
	s_delay_alu instid0(VALU_DEP_4) | instskip(NEXT) | instid1(VALU_DEP_2)
	v_bitop3_b16 v15, v10, v11, 0xff bitop3:0xec
	v_or_b32_e32 v10, v7, v14
	v_bitop3_b32 v11, v7, 0xff000000, v14 bitop3:0xc8
	global_store_b16 v[12:13], v15, off offset:6
	s_cbranch_scc1 .LBB6_26
; %bb.27:
	v_bfi_b32 v2, 0xffff, v7, v10
	global_store_b32 v[0:1], v2, off offset:2
.LBB6_28:
	s_endpgm
	.section	.rodata,"a",@progbits
	.p2align	6, 0x0
	.amdhsa_kernel _ZL9cpy_f32_qIXadL_ZL17cpy_blck_f32_q5_0PKcPcEELi32EEvS1_S2_lllllllllllllll
		.amdhsa_group_segment_fixed_size 0
		.amdhsa_private_segment_fixed_size 0
		.amdhsa_kernarg_size 392
		.amdhsa_user_sgpr_count 2
		.amdhsa_user_sgpr_dispatch_ptr 0
		.amdhsa_user_sgpr_queue_ptr 0
		.amdhsa_user_sgpr_kernarg_segment_ptr 1
		.amdhsa_user_sgpr_dispatch_id 0
		.amdhsa_user_sgpr_kernarg_preload_length 0
		.amdhsa_user_sgpr_kernarg_preload_offset 0
		.amdhsa_user_sgpr_private_segment_size 0
		.amdhsa_wavefront_size32 1
		.amdhsa_uses_dynamic_stack 0
		.amdhsa_enable_private_segment 0
		.amdhsa_system_sgpr_workgroup_id_x 1
		.amdhsa_system_sgpr_workgroup_id_y 0
		.amdhsa_system_sgpr_workgroup_id_z 0
		.amdhsa_system_sgpr_workgroup_info 0
		.amdhsa_system_vgpr_workitem_id 0
		.amdhsa_next_free_vgpr 54
		.amdhsa_next_free_sgpr 52
		.amdhsa_named_barrier_count 0
		.amdhsa_reserve_vcc 1
		.amdhsa_float_round_mode_32 0
		.amdhsa_float_round_mode_16_64 0
		.amdhsa_float_denorm_mode_32 3
		.amdhsa_float_denorm_mode_16_64 3
		.amdhsa_fp16_overflow 0
		.amdhsa_memory_ordered 1
		.amdhsa_forward_progress 1
		.amdhsa_inst_pref_size 53
		.amdhsa_round_robin_scheduling 0
		.amdhsa_exception_fp_ieee_invalid_op 0
		.amdhsa_exception_fp_denorm_src 0
		.amdhsa_exception_fp_ieee_div_zero 0
		.amdhsa_exception_fp_ieee_overflow 0
		.amdhsa_exception_fp_ieee_underflow 0
		.amdhsa_exception_fp_ieee_inexact 0
		.amdhsa_exception_int_div_zero 0
	.end_amdhsa_kernel
	.section	.text._ZL9cpy_f32_qIXadL_ZL17cpy_blck_f32_q5_0PKcPcEELi32EEvS1_S2_lllllllllllllll,"axG",@progbits,_ZL9cpy_f32_qIXadL_ZL17cpy_blck_f32_q5_0PKcPcEELi32EEvS1_S2_lllllllllllllll,comdat
.Lfunc_end6:
	.size	_ZL9cpy_f32_qIXadL_ZL17cpy_blck_f32_q5_0PKcPcEELi32EEvS1_S2_lllllllllllllll, .Lfunc_end6-_ZL9cpy_f32_qIXadL_ZL17cpy_blck_f32_q5_0PKcPcEELi32EEvS1_S2_lllllllllllllll
                                        ; -- End function
	.set _ZL9cpy_f32_qIXadL_ZL17cpy_blck_f32_q5_0PKcPcEELi32EEvS1_S2_lllllllllllllll.num_vgpr, 54
	.set _ZL9cpy_f32_qIXadL_ZL17cpy_blck_f32_q5_0PKcPcEELi32EEvS1_S2_lllllllllllllll.num_agpr, 0
	.set _ZL9cpy_f32_qIXadL_ZL17cpy_blck_f32_q5_0PKcPcEELi32EEvS1_S2_lllllllllllllll.numbered_sgpr, 52
	.set _ZL9cpy_f32_qIXadL_ZL17cpy_blck_f32_q5_0PKcPcEELi32EEvS1_S2_lllllllllllllll.num_named_barrier, 0
	.set _ZL9cpy_f32_qIXadL_ZL17cpy_blck_f32_q5_0PKcPcEELi32EEvS1_S2_lllllllllllllll.private_seg_size, 0
	.set _ZL9cpy_f32_qIXadL_ZL17cpy_blck_f32_q5_0PKcPcEELi32EEvS1_S2_lllllllllllllll.uses_vcc, 1
	.set _ZL9cpy_f32_qIXadL_ZL17cpy_blck_f32_q5_0PKcPcEELi32EEvS1_S2_lllllllllllllll.uses_flat_scratch, 0
	.set _ZL9cpy_f32_qIXadL_ZL17cpy_blck_f32_q5_0PKcPcEELi32EEvS1_S2_lllllllllllllll.has_dyn_sized_stack, 0
	.set _ZL9cpy_f32_qIXadL_ZL17cpy_blck_f32_q5_0PKcPcEELi32EEvS1_S2_lllllllllllllll.has_recursion, 0
	.set _ZL9cpy_f32_qIXadL_ZL17cpy_blck_f32_q5_0PKcPcEELi32EEvS1_S2_lllllllllllllll.has_indirect_call, 0
	.section	.AMDGPU.csdata,"",@progbits
; Kernel info:
; codeLenInByte = 6692
; TotalNumSgprs: 54
; NumVgprs: 54
; ScratchSize: 0
; MemoryBound: 0
; FloatMode: 240
; IeeeMode: 1
; LDSByteSize: 0 bytes/workgroup (compile time only)
; SGPRBlocks: 0
; VGPRBlocks: 3
; NumSGPRsForWavesPerEU: 54
; NumVGPRsForWavesPerEU: 54
; NamedBarCnt: 0
; Occupancy: 16
; WaveLimiterHint : 0
; COMPUTE_PGM_RSRC2:SCRATCH_EN: 0
; COMPUTE_PGM_RSRC2:USER_SGPR: 2
; COMPUTE_PGM_RSRC2:TRAP_HANDLER: 0
; COMPUTE_PGM_RSRC2:TGID_X_EN: 1
; COMPUTE_PGM_RSRC2:TGID_Y_EN: 0
; COMPUTE_PGM_RSRC2:TGID_Z_EN: 0
; COMPUTE_PGM_RSRC2:TIDIG_COMP_CNT: 0
	.section	.text._ZL9cpy_q_f32IXadL_ZL14cpy_blck_q_f32IXadL_ZL15dequantize_q5_0PKvliR15HIP_vector_typeIfLj2EEEELi32EEvPKcPcEELi32EEvS7_S8_lllllllllllllll,"axG",@progbits,_ZL9cpy_q_f32IXadL_ZL14cpy_blck_q_f32IXadL_ZL15dequantize_q5_0PKvliR15HIP_vector_typeIfLj2EEEELi32EEvPKcPcEELi32EEvS7_S8_lllllllllllllll,comdat
	.globl	_ZL9cpy_q_f32IXadL_ZL14cpy_blck_q_f32IXadL_ZL15dequantize_q5_0PKvliR15HIP_vector_typeIfLj2EEEELi32EEvPKcPcEELi32EEvS7_S8_lllllllllllllll ; -- Begin function _ZL9cpy_q_f32IXadL_ZL14cpy_blck_q_f32IXadL_ZL15dequantize_q5_0PKvliR15HIP_vector_typeIfLj2EEEELi32EEvPKcPcEELi32EEvS7_S8_lllllllllllllll
	.p2align	8
	.type	_ZL9cpy_q_f32IXadL_ZL14cpy_blck_q_f32IXadL_ZL15dequantize_q5_0PKvliR15HIP_vector_typeIfLj2EEEELi32EEvPKcPcEELi32EEvS7_S8_lllllllllllllll,@function
_ZL9cpy_q_f32IXadL_ZL14cpy_blck_q_f32IXadL_ZL15dequantize_q5_0PKvliR15HIP_vector_typeIfLj2EEEELi32EEvPKcPcEELi32EEvS7_S8_lllllllllllllll: ; @_ZL9cpy_q_f32IXadL_ZL14cpy_blck_q_f32IXadL_ZL15dequantize_q5_0PKvliR15HIP_vector_typeIfLj2EEEELi32EEvPKcPcEELi32EEvS7_S8_lllllllllllllll
; %bb.0:
	s_load_b32 s2, s[0:1], 0x94
	s_bfe_u32 s3, ttmp6, 0x4000c
	v_mov_b32_e32 v2, 0
	s_add_co_i32 s3, s3, 1
	s_and_b32 s4, ttmp6, 15
	s_mul_i32 s3, ttmp9, s3
	s_getreg_b32 s5, hwreg(HW_REG_IB_STS2, 6, 4)
	v_mov_b32_e32 v1, v2
	s_add_co_i32 s3, s4, s3
	s_wait_kmcnt 0x0
	s_and_b32 s2, s2, 0xffff
	s_cmp_eq_u32 s5, 0
	s_load_b512 s[4:19], s[0:1], 0x0
	s_cselect_b32 s3, ttmp9, s3
	s_delay_alu instid0(SALU_CYCLE_1) | instskip(SKIP_1) | instid1(VALU_DEP_1)
	v_mad_nc_u64_u32 v[0:1], s2, s3, v[0:1]
	s_mov_b32 s2, exec_lo
	v_lshlrev_b64_e32 v[4:5], 5, v[0:1]
	s_wait_kmcnt 0x0
	s_delay_alu instid0(VALU_DEP_1)
	v_cmpx_gt_i64_e64 s[8:9], v[4:5]
	s_cbranch_execz .LBB7_26
; %bb.1:
	s_mul_u64 s[8:9], s[12:13], s[10:11]
                                        ; implicit-def: $vgpr0_vgpr1
	s_mov_b32 s2, exec_lo
	s_mul_u64 s[12:13], s[8:9], s[14:15]
	s_delay_alu instid0(SALU_CYCLE_1) | instskip(NEXT) | instid1(VALU_DEP_1)
	v_dual_ashrrev_i32 v8, 31, v5 :: v_dual_bitop2_b32 v3, s13, v5 bitop3:0x54
	v_cmpx_ne_u64_e32 0, v[2:3]
	s_xor_b32 s3, exec_lo, s2
	s_cbranch_execz .LBB7_3
; %bb.2:
	s_ashr_i32 s14, s13, 31
	s_mov_b32 s29, 0
	s_mov_b32 s15, s14
	v_dual_mov_b32 v9, v8 :: v_dual_mov_b32 v3, 0
	s_add_nc_u64 s[20:21], s[12:13], s[14:15]
	s_delay_alu instid0(SALU_CYCLE_1) | instskip(NEXT) | instid1(VALU_DEP_1)
	s_xor_b64 s[20:21], s[20:21], s[14:15]
	v_add_nc_u64_e32 v[0:1], v[4:5], v[8:9]
	s_cvt_f32_u32 s2, s20
	s_cvt_f32_u32 s15, s21
	s_sub_nc_u64 s[24:25], 0, s[20:21]
	v_dual_mov_b32 v7, v3 :: v_dual_mov_b32 v15, v3
	s_delay_alu instid0(SALU_CYCLE_1) | instskip(NEXT) | instid1(VALU_DEP_2)
	s_fmamk_f32 s2, s15, 0x4f800000, s2
	v_xor_b32_e32 v2, v0, v8
	v_xor_b32_e32 v6, v1, v8
	s_delay_alu instid0(SALU_CYCLE_1) | instskip(NEXT) | instid1(TRANS32_DEP_1)
	v_s_rcp_f32 s2, s2
	s_mul_f32 s2, s2, 0x5f7ffffc
	s_delay_alu instid0(SALU_CYCLE_3) | instskip(NEXT) | instid1(SALU_CYCLE_3)
	s_mul_f32 s15, s2, 0x2f800000
	s_trunc_f32 s15, s15
	s_delay_alu instid0(SALU_CYCLE_3) | instskip(SKIP_1) | instid1(SALU_CYCLE_2)
	s_fmamk_f32 s2, s15, 0xcf800000, s2
	s_cvt_u32_f32 s23, s15
	s_cvt_u32_f32 s22, s2
	s_delay_alu instid0(SALU_CYCLE_3) | instskip(NEXT) | instid1(SALU_CYCLE_1)
	s_mul_u64 s[26:27], s[24:25], s[22:23]
	s_mul_hi_u32 s31, s22, s27
	s_mul_i32 s30, s22, s27
	s_mul_hi_u32 s28, s22, s26
	s_mul_i32 s15, s23, s26
	s_add_nc_u64 s[30:31], s[28:29], s[30:31]
	s_mul_hi_u32 s2, s23, s26
	s_mul_hi_u32 s33, s23, s27
	s_add_co_u32 s15, s30, s15
	s_add_co_ci_u32 s28, s31, s2
	s_mul_i32 s26, s23, s27
	s_add_co_ci_u32 s27, s33, 0
	s_delay_alu instid0(SALU_CYCLE_1) | instskip(NEXT) | instid1(SALU_CYCLE_1)
	s_add_nc_u64 s[26:27], s[28:29], s[26:27]
	s_add_co_u32 s22, s22, s26
	s_cselect_b32 s2, -1, 0
	s_delay_alu instid0(SALU_CYCLE_1) | instskip(SKIP_1) | instid1(SALU_CYCLE_1)
	s_cmp_lg_u32 s2, 0
	s_add_co_ci_u32 s23, s23, s27
	s_mul_u64 s[24:25], s[24:25], s[22:23]
	s_delay_alu instid0(SALU_CYCLE_1)
	s_mul_hi_u32 s27, s22, s25
	s_mul_i32 s26, s22, s25
	s_mul_hi_u32 s28, s22, s24
	s_mul_i32 s15, s23, s24
	s_add_nc_u64 s[26:27], s[28:29], s[26:27]
	s_mul_hi_u32 s2, s23, s24
	s_mul_hi_u32 s30, s23, s25
	s_add_co_u32 s15, s26, s15
	s_add_co_ci_u32 s28, s27, s2
	s_mul_i32 s24, s23, s25
	s_add_co_ci_u32 s25, s30, 0
	s_delay_alu instid0(SALU_CYCLE_1) | instskip(NEXT) | instid1(SALU_CYCLE_1)
	s_add_nc_u64 s[24:25], s[28:29], s[24:25]
	s_add_co_u32 s2, s22, s24
	s_cselect_b32 s15, -1, 0
	v_nop
	v_mul_hi_u32 v14, v2, s2
	s_cmp_lg_u32 s15, 0
	s_add_co_ci_u32 s28, s23, s25
	s_mov_b64 s[22:23], 0xffffffff
	v_mul_u64_e32 v[10:11], s[28:29], v[2:3]
	s_and_b64 s[22:23], s[2:3], s[22:23]
	v_mul_u64_e32 v[12:13], s[28:29], v[6:7]
	v_mul_u64_e32 v[0:1], s[22:23], v[6:7]
	s_delay_alu instid0(VALU_DEP_3) | instskip(NEXT) | instid1(VALU_DEP_1)
	v_add_nc_u64_e32 v[10:11], v[14:15], v[10:11]
	v_add_co_u32 v0, vcc_lo, v10, v0
	s_delay_alu instid0(VALU_DEP_2) | instskip(SKIP_1) | instid1(VALU_DEP_1)
	v_add_co_ci_u32_e32 v14, vcc_lo, v11, v1, vcc_lo
	v_add_co_ci_u32_e32 v13, vcc_lo, 0, v13, vcc_lo
	v_add_nc_u64_e32 v[0:1], v[14:15], v[12:13]
	s_delay_alu instid0(VALU_DEP_1) | instskip(NEXT) | instid1(VALU_DEP_1)
	v_mul_u64_e32 v[10:11], s[20:21], v[0:1]
	v_sub_nc_u32_e32 v3, v6, v11
	s_delay_alu instid0(VALU_DEP_2) | instskip(NEXT) | instid1(VALU_DEP_1)
	v_sub_co_u32 v2, vcc_lo, v2, v10
	v_sub_co_ci_u32_e64 v9, null, v6, v11, vcc_lo
	s_delay_alu instid0(VALU_DEP_3) | instskip(NEXT) | instid1(VALU_DEP_3)
	v_subrev_co_ci_u32_e64 v3, null, s21, v3, vcc_lo
	v_sub_co_u32 v7, s2, v2, s20
	s_delay_alu instid0(VALU_DEP_1) | instskip(NEXT) | instid1(VALU_DEP_2)
	v_subrev_co_ci_u32_e64 v3, null, 0, v3, s2
	v_cmp_le_u32_e32 vcc_lo, s20, v7
	v_cndmask_b32_e64 v6, 0, -1, vcc_lo
	s_delay_alu instid0(VALU_DEP_3)
	v_cmp_le_u32_e32 vcc_lo, s21, v3
	v_cndmask_b32_e64 v7, 0, -1, vcc_lo
	v_cmp_le_u32_e32 vcc_lo, s20, v2
	v_cndmask_b32_e64 v10, 0, -1, vcc_lo
	;; [unrolled: 2-line block ×3, first 2 shown]
	v_cmp_eq_u32_e32 vcc_lo, s21, v3
	v_add_nc_u64_e32 v[2:3], 2, v[0:1]
	v_cndmask_b32_e32 v12, v7, v6, vcc_lo
	v_cmp_eq_u32_e32 vcc_lo, s21, v9
	v_add_nc_u64_e32 v[6:7], 1, v[0:1]
	v_cndmask_b32_e32 v9, v11, v10, vcc_lo
	s_delay_alu instid0(VALU_DEP_4) | instskip(NEXT) | instid1(VALU_DEP_3)
	v_cmp_ne_u32_e32 vcc_lo, 0, v12
	v_dual_cndmask_b32 v3, v7, v3 :: v_dual_cndmask_b32 v6, v6, v2
	v_xor_b32_e32 v2, s14, v8
	s_delay_alu instid0(VALU_DEP_4) | instskip(NEXT) | instid1(VALU_DEP_1)
	v_cmp_ne_u32_e64 s2, 0, v9
	v_dual_cndmask_b32 v1, v1, v3, s2 :: v_dual_cndmask_b32 v0, v0, v6, s2
	s_delay_alu instid0(VALU_DEP_1) | instskip(NEXT) | instid1(VALU_DEP_2)
	v_dual_mov_b32 v3, v2 :: v_dual_bitop2_b32 v1, v1, v2 bitop3:0x14
	v_xor_b32_e32 v0, v0, v2
	s_delay_alu instid0(VALU_DEP_1)
	v_sub_nc_u64_e32 v[0:1], v[0:1], v[2:3]
.LBB7_3:
	s_and_not1_saveexec_b32 s2, s3
	s_cbranch_execz .LBB7_5
; %bb.4:
	v_cvt_f32_u32_e32 v0, s12
	s_sub_co_i32 s3, 0, s12
	s_delay_alu instid0(VALU_DEP_1) | instskip(SKIP_1) | instid1(TRANS32_DEP_1)
	v_rcp_iflag_f32_e32 v0, v0
	v_nop
	v_mul_f32_e32 v0, 0x4f7ffffe, v0
	s_delay_alu instid0(VALU_DEP_1) | instskip(NEXT) | instid1(VALU_DEP_1)
	v_cvt_u32_f32_e32 v0, v0
	v_mul_lo_u32 v1, s3, v0
	s_delay_alu instid0(VALU_DEP_1) | instskip(NEXT) | instid1(VALU_DEP_1)
	v_mul_hi_u32 v1, v0, v1
	v_add_nc_u32_e32 v0, v0, v1
	s_delay_alu instid0(VALU_DEP_1) | instskip(NEXT) | instid1(VALU_DEP_1)
	v_mul_hi_u32 v0, v4, v0
	v_mul_lo_u32 v1, v0, s12
	s_delay_alu instid0(VALU_DEP_1) | instskip(NEXT) | instid1(VALU_DEP_1)
	v_dual_add_nc_u32 v2, 1, v0 :: v_dual_sub_nc_u32 v1, v4, v1
	v_subrev_nc_u32_e32 v3, s12, v1
	v_cmp_le_u32_e32 vcc_lo, s12, v1
	s_delay_alu instid0(VALU_DEP_2) | instskip(NEXT) | instid1(VALU_DEP_1)
	v_dual_cndmask_b32 v1, v1, v3 :: v_dual_cndmask_b32 v0, v0, v2
	v_cmp_le_u32_e32 vcc_lo, s12, v1
	s_delay_alu instid0(VALU_DEP_2) | instskip(NEXT) | instid1(VALU_DEP_1)
	v_dual_mov_b32 v1, 0 :: v_dual_add_nc_u32 v2, 1, v0
	v_cndmask_b32_e32 v0, v0, v2, vcc_lo
.LBB7_5:
	s_or_b32 exec_lo, exec_lo, s2
	s_delay_alu instid0(VALU_DEP_1) | instskip(SKIP_2) | instid1(VALU_DEP_2)
	v_mul_u64_e32 v[2:3], s[12:13], v[0:1]
	s_mov_b32 s2, exec_lo
	v_mov_b32_e32 v10, 0
	v_sub_nc_u64_e32 v[6:7], v[4:5], v[2:3]
                                        ; implicit-def: $vgpr2_vgpr3
	s_delay_alu instid0(VALU_DEP_1) | instskip(NEXT) | instid1(VALU_DEP_1)
	v_or_b32_e32 v11, s9, v7
	v_cmpx_ne_u64_e32 0, v[10:11]
	s_xor_b32 s3, exec_lo, s2
	s_cbranch_execz .LBB7_7
; %bb.6:
	s_ashr_i32 s12, s9, 31
	s_mov_b32 s27, 0
	s_mov_b32 s13, s12
	v_dual_mov_b32 v15, v10 :: v_dual_ashrrev_i32 v2, 31, v7
	s_add_nc_u64 s[14:15], s[8:9], s[12:13]
	v_dual_mov_b32 v23, v10 :: v_dual_mov_b32 v11, v10
	s_xor_b64 s[14:15], s[14:15], s[12:13]
	s_delay_alu instid0(VALU_DEP_2) | instskip(SKIP_3) | instid1(VALU_DEP_1)
	v_mov_b32_e32 v3, v2
	s_cvt_f32_u32 s2, s14
	s_cvt_f32_u32 s13, s15
	s_sub_nc_u64 s[22:23], 0, s[14:15]
	v_add_nc_u64_e32 v[12:13], v[6:7], v[2:3]
	s_delay_alu instid0(SALU_CYCLE_1) | instskip(SKIP_1) | instid1(SALU_CYCLE_2)
	s_fmamk_f32 s2, s13, 0x4f800000, s2
	v_mov_b32_e32 v17, v10
	v_s_rcp_f32 s2, s2
	s_delay_alu instid0(VALU_DEP_2) | instskip(NEXT) | instid1(VALU_DEP_3)
	v_xor_b32_e32 v14, v12, v2
	v_xor_b32_e32 v16, v13, v2
	;; [unrolled: 1-line block ×3, first 2 shown]
	s_delay_alu instid0(TRANS32_DEP_1) | instskip(NEXT) | instid1(SALU_CYCLE_3)
	s_mul_f32 s2, s2, 0x5f7ffffc
	s_mul_f32 s13, s2, 0x2f800000
	s_delay_alu instid0(SALU_CYCLE_3) | instskip(NEXT) | instid1(SALU_CYCLE_3)
	s_trunc_f32 s13, s13
	s_fmamk_f32 s2, s13, 0xcf800000, s2
	s_cvt_u32_f32 s21, s13
	s_delay_alu instid0(SALU_CYCLE_2) | instskip(NEXT) | instid1(SALU_CYCLE_3)
	s_cvt_u32_f32 s20, s2
	s_mul_u64 s[24:25], s[22:23], s[20:21]
	s_delay_alu instid0(SALU_CYCLE_1)
	s_mul_hi_u32 s29, s20, s25
	s_mul_i32 s28, s20, s25
	s_mul_hi_u32 s26, s20, s24
	s_mul_i32 s13, s21, s24
	s_add_nc_u64 s[28:29], s[26:27], s[28:29]
	s_mul_hi_u32 s2, s21, s24
	s_mul_hi_u32 s30, s21, s25
	s_add_co_u32 s13, s28, s13
	s_add_co_ci_u32 s26, s29, s2
	s_mul_i32 s24, s21, s25
	s_add_co_ci_u32 s25, s30, 0
	s_delay_alu instid0(SALU_CYCLE_1) | instskip(NEXT) | instid1(SALU_CYCLE_1)
	s_add_nc_u64 s[24:25], s[26:27], s[24:25]
	s_add_co_u32 s20, s20, s24
	s_cselect_b32 s2, -1, 0
	s_delay_alu instid0(SALU_CYCLE_1) | instskip(SKIP_1) | instid1(SALU_CYCLE_1)
	s_cmp_lg_u32 s2, 0
	s_add_co_ci_u32 s21, s21, s25
	s_mul_u64 s[22:23], s[22:23], s[20:21]
	s_delay_alu instid0(SALU_CYCLE_1)
	s_mul_hi_u32 s25, s20, s23
	s_mul_i32 s24, s20, s23
	s_mul_hi_u32 s26, s20, s22
	s_mul_i32 s13, s21, s22
	s_add_nc_u64 s[24:25], s[26:27], s[24:25]
	s_mul_hi_u32 s2, s21, s22
	s_mul_hi_u32 s28, s21, s23
	s_add_co_u32 s13, s24, s13
	s_add_co_ci_u32 s26, s25, s2
	s_mul_i32 s22, s21, s23
	s_add_co_ci_u32 s23, s28, 0
	s_delay_alu instid0(SALU_CYCLE_1) | instskip(NEXT) | instid1(SALU_CYCLE_1)
	s_add_nc_u64 s[22:23], s[26:27], s[22:23]
	s_add_co_u32 s2, s20, s22
	s_cselect_b32 s13, -1, 0
	v_mul_hi_u32 v22, v14, s2
	s_cmp_lg_u32 s13, 0
	s_add_co_ci_u32 s26, s21, s23
	s_mov_b64 s[20:21], 0xffffffff
	v_mul_u64_e32 v[18:19], s[26:27], v[14:15]
	s_and_b64 s[20:21], s[2:3], s[20:21]
	v_mul_u64_e32 v[20:21], s[26:27], v[16:17]
	v_mul_u64_e32 v[12:13], s[20:21], v[16:17]
	s_delay_alu instid0(VALU_DEP_3) | instskip(NEXT) | instid1(VALU_DEP_1)
	v_add_nc_u64_e32 v[18:19], v[22:23], v[18:19]
	v_add_co_u32 v3, vcc_lo, v18, v12
	s_delay_alu instid0(VALU_DEP_2) | instskip(SKIP_1) | instid1(VALU_DEP_1)
	v_add_co_ci_u32_e32 v10, vcc_lo, v19, v13, vcc_lo
	v_add_co_ci_u32_e32 v21, vcc_lo, 0, v21, vcc_lo
	v_add_nc_u64_e32 v[10:11], v[10:11], v[20:21]
	s_delay_alu instid0(VALU_DEP_1) | instskip(NEXT) | instid1(VALU_DEP_1)
	v_mul_u64_e32 v[12:13], s[14:15], v[10:11]
	v_sub_co_u32 v9, vcc_lo, v14, v12
	v_add_nc_u64_e32 v[14:15], 1, v[10:11]
	s_delay_alu instid0(VALU_DEP_3) | instskip(SKIP_1) | instid1(VALU_DEP_4)
	v_sub_nc_u32_e32 v3, v16, v13
	v_sub_co_ci_u32_e64 v16, null, v16, v13, vcc_lo
	v_sub_co_u32 v12, s2, v9, s14
	s_delay_alu instid0(VALU_DEP_3) | instskip(NEXT) | instid1(VALU_DEP_2)
	v_subrev_co_ci_u32_e64 v3, null, s15, v3, vcc_lo
	v_cmp_le_u32_e32 vcc_lo, s14, v12
	s_delay_alu instid0(VALU_DEP_2) | instskip(SKIP_1) | instid1(VALU_DEP_2)
	v_subrev_co_ci_u32_e64 v3, null, 0, v3, s2
	v_cndmask_b32_e64 v12, 0, -1, vcc_lo
	v_cmp_le_u32_e32 vcc_lo, s15, v3
	v_cndmask_b32_e64 v13, 0, -1, vcc_lo
	v_cmp_le_u32_e32 vcc_lo, s14, v9
	;; [unrolled: 2-line block ×3, first 2 shown]
	v_cndmask_b32_e64 v17, 0, -1, vcc_lo
	v_cmp_eq_u32_e32 vcc_lo, s15, v3
	v_cndmask_b32_e32 v3, v13, v12, vcc_lo
	v_cmp_eq_u32_e32 vcc_lo, s15, v16
	v_add_nc_u64_e32 v[12:13], 2, v[10:11]
	v_cndmask_b32_e32 v9, v17, v9, vcc_lo
	s_delay_alu instid0(VALU_DEP_4) | instskip(NEXT) | instid1(VALU_DEP_2)
	v_cmp_ne_u32_e32 vcc_lo, 0, v3
	v_cmp_ne_u32_e64 s2, 0, v9
	s_delay_alu instid0(VALU_DEP_4) | instskip(NEXT) | instid1(VALU_DEP_1)
	v_cndmask_b32_e32 v9, v14, v12, vcc_lo
	v_cndmask_b32_e64 v9, v10, v9, s2
	s_delay_alu instid0(VALU_DEP_1) | instskip(NEXT) | instid1(VALU_DEP_1)
	v_dual_cndmask_b32 v3, v15, v13, vcc_lo :: v_dual_bitop2_b32 v10, v9, v2 bitop3:0x14
	v_dual_cndmask_b32 v11, v11, v3, s2 :: v_dual_mov_b32 v3, v2
	s_delay_alu instid0(VALU_DEP_1) | instskip(NEXT) | instid1(VALU_DEP_1)
	v_xor_b32_e32 v11, v11, v2
	v_sub_nc_u64_e32 v[2:3], v[10:11], v[2:3]
.LBB7_7:
	s_and_not1_saveexec_b32 s2, s3
	s_cbranch_execz .LBB7_9
; %bb.8:
	v_cvt_f32_u32_e32 v2, s8
	s_sub_co_i32 s3, 0, s8
	s_delay_alu instid0(VALU_DEP_1) | instskip(SKIP_1) | instid1(TRANS32_DEP_1)
	v_rcp_iflag_f32_e32 v2, v2
	v_nop
	v_mul_f32_e32 v2, 0x4f7ffffe, v2
	s_delay_alu instid0(VALU_DEP_1) | instskip(NEXT) | instid1(VALU_DEP_1)
	v_cvt_u32_f32_e32 v2, v2
	v_mul_lo_u32 v3, s3, v2
	s_delay_alu instid0(VALU_DEP_1) | instskip(NEXT) | instid1(VALU_DEP_1)
	v_mul_hi_u32 v3, v2, v3
	v_add_nc_u32_e32 v2, v2, v3
	s_delay_alu instid0(VALU_DEP_1) | instskip(NEXT) | instid1(VALU_DEP_1)
	v_mul_hi_u32 v2, v6, v2
	v_mul_lo_u32 v3, v2, s8
	s_delay_alu instid0(VALU_DEP_1) | instskip(NEXT) | instid1(VALU_DEP_1)
	v_dual_add_nc_u32 v9, 1, v2 :: v_dual_sub_nc_u32 v3, v6, v3
	v_subrev_nc_u32_e32 v10, s8, v3
	v_cmp_le_u32_e32 vcc_lo, s8, v3
	s_delay_alu instid0(VALU_DEP_2) | instskip(NEXT) | instid1(VALU_DEP_1)
	v_dual_cndmask_b32 v3, v3, v10 :: v_dual_cndmask_b32 v2, v2, v9
	v_cmp_le_u32_e32 vcc_lo, s8, v3
	s_delay_alu instid0(VALU_DEP_2) | instskip(NEXT) | instid1(VALU_DEP_1)
	v_dual_add_nc_u32 v9, 1, v2 :: v_dual_mov_b32 v3, 0
	v_cndmask_b32_e32 v2, v2, v9, vcc_lo
.LBB7_9:
	s_or_b32 exec_lo, exec_lo, s2
	s_delay_alu instid0(VALU_DEP_1) | instskip(SKIP_2) | instid1(VALU_DEP_2)
	v_mul_u64_e32 v[10:11], s[8:9], v[2:3]
	s_mov_b32 s2, exec_lo
	v_mov_b32_e32 v12, 0
	v_sub_nc_u64_e32 v[6:7], v[6:7], v[10:11]
                                        ; implicit-def: $vgpr10_vgpr11
	s_delay_alu instid0(VALU_DEP_1) | instskip(NEXT) | instid1(VALU_DEP_1)
	v_or_b32_e32 v13, s11, v7
	v_cmpx_ne_u64_e32 0, v[12:13]
	s_xor_b32 s3, exec_lo, s2
	s_cbranch_execz .LBB7_11
; %bb.10:
	s_ashr_i32 s8, s11, 31
	s_mov_b32 s25, 0
	s_mov_b32 s9, s8
	v_dual_mov_b32 v17, v12 :: v_dual_ashrrev_i32 v10, 31, v7
	s_add_nc_u64 s[12:13], s[10:11], s[8:9]
	v_mov_b32_e32 v19, v12
	s_xor_b64 s[12:13], s[12:13], s[8:9]
	s_delay_alu instid0(VALU_DEP_2)
	v_mov_b32_e32 v11, v10
	s_cvt_f32_u32 s2, s12
	s_cvt_f32_u32 s9, s13
	s_sub_nc_u64 s[20:21], 0, s[12:13]
	v_mov_b32_e32 v25, v12
	v_add_nc_u64_e32 v[14:15], v[6:7], v[10:11]
	s_fmamk_f32 s2, s9, 0x4f800000, s2
	v_mov_b32_e32 v13, v12
	s_delay_alu instid0(SALU_CYCLE_2) | instskip(NEXT) | instid1(VALU_DEP_2)
	v_s_rcp_f32 s2, s2
	v_xor_b32_e32 v16, v14, v10
	s_delay_alu instid0(VALU_DEP_3) | instskip(SKIP_1) | instid1(TRANS32_DEP_1)
	v_xor_b32_e32 v18, v15, v10
	v_xor_b32_e32 v10, s8, v10
	s_mul_f32 s2, s2, 0x5f7ffffc
	s_delay_alu instid0(SALU_CYCLE_3) | instskip(NEXT) | instid1(SALU_CYCLE_3)
	s_mul_f32 s9, s2, 0x2f800000
	s_trunc_f32 s9, s9
	s_delay_alu instid0(SALU_CYCLE_3) | instskip(SKIP_1) | instid1(SALU_CYCLE_2)
	s_fmamk_f32 s2, s9, 0xcf800000, s2
	s_cvt_u32_f32 s15, s9
	s_cvt_u32_f32 s14, s2
	s_delay_alu instid0(SALU_CYCLE_3) | instskip(NEXT) | instid1(SALU_CYCLE_1)
	s_mul_u64 s[22:23], s[20:21], s[14:15]
	s_mul_hi_u32 s27, s14, s23
	s_mul_i32 s26, s14, s23
	s_mul_hi_u32 s24, s14, s22
	s_mul_i32 s9, s15, s22
	s_add_nc_u64 s[26:27], s[24:25], s[26:27]
	s_mul_hi_u32 s2, s15, s22
	s_mul_hi_u32 s28, s15, s23
	s_add_co_u32 s9, s26, s9
	s_add_co_ci_u32 s24, s27, s2
	s_mul_i32 s22, s15, s23
	s_add_co_ci_u32 s23, s28, 0
	s_delay_alu instid0(SALU_CYCLE_1) | instskip(NEXT) | instid1(SALU_CYCLE_1)
	s_add_nc_u64 s[22:23], s[24:25], s[22:23]
	s_add_co_u32 s14, s14, s22
	s_cselect_b32 s2, -1, 0
	s_delay_alu instid0(SALU_CYCLE_1) | instskip(SKIP_1) | instid1(SALU_CYCLE_1)
	s_cmp_lg_u32 s2, 0
	s_add_co_ci_u32 s15, s15, s23
	s_mul_u64 s[20:21], s[20:21], s[14:15]
	s_delay_alu instid0(SALU_CYCLE_1)
	s_mul_hi_u32 s23, s14, s21
	s_mul_i32 s22, s14, s21
	s_mul_hi_u32 s24, s14, s20
	s_mul_i32 s9, s15, s20
	s_add_nc_u64 s[22:23], s[24:25], s[22:23]
	s_mul_hi_u32 s2, s15, s20
	s_mul_hi_u32 s26, s15, s21
	s_add_co_u32 s9, s22, s9
	s_add_co_ci_u32 s24, s23, s2
	s_mul_i32 s20, s15, s21
	s_add_co_ci_u32 s21, s26, 0
	s_delay_alu instid0(SALU_CYCLE_1) | instskip(NEXT) | instid1(SALU_CYCLE_1)
	s_add_nc_u64 s[20:21], s[24:25], s[20:21]
	s_add_co_u32 s2, s14, s20
	s_cselect_b32 s9, -1, 0
	v_mul_hi_u32 v24, v16, s2
	s_cmp_lg_u32 s9, 0
	s_add_co_ci_u32 s24, s15, s21
	s_mov_b64 s[14:15], 0xffffffff
	v_mul_u64_e32 v[20:21], s[24:25], v[16:17]
	s_and_b64 s[14:15], s[2:3], s[14:15]
	v_mul_u64_e32 v[22:23], s[24:25], v[18:19]
	v_mul_u64_e32 v[14:15], s[14:15], v[18:19]
	s_delay_alu instid0(VALU_DEP_3) | instskip(NEXT) | instid1(VALU_DEP_1)
	v_add_nc_u64_e32 v[20:21], v[24:25], v[20:21]
	v_add_co_u32 v9, vcc_lo, v20, v14
	s_delay_alu instid0(VALU_DEP_2) | instskip(SKIP_1) | instid1(VALU_DEP_1)
	v_add_co_ci_u32_e32 v12, vcc_lo, v21, v15, vcc_lo
	v_add_co_ci_u32_e32 v23, vcc_lo, 0, v23, vcc_lo
	v_add_nc_u64_e32 v[12:13], v[12:13], v[22:23]
	s_delay_alu instid0(VALU_DEP_1) | instskip(NEXT) | instid1(VALU_DEP_1)
	v_mul_u64_e32 v[14:15], s[12:13], v[12:13]
	v_sub_co_u32 v11, vcc_lo, v16, v14
	v_add_nc_u64_e32 v[16:17], 1, v[12:13]
	s_delay_alu instid0(VALU_DEP_3) | instskip(SKIP_1) | instid1(VALU_DEP_4)
	v_sub_nc_u32_e32 v9, v18, v15
	v_sub_co_ci_u32_e64 v18, null, v18, v15, vcc_lo
	v_sub_co_u32 v14, s2, v11, s12
	s_delay_alu instid0(VALU_DEP_3) | instskip(NEXT) | instid1(VALU_DEP_2)
	v_subrev_co_ci_u32_e64 v9, null, s13, v9, vcc_lo
	v_cmp_le_u32_e32 vcc_lo, s12, v14
	s_delay_alu instid0(VALU_DEP_2) | instskip(SKIP_1) | instid1(VALU_DEP_2)
	v_subrev_co_ci_u32_e64 v9, null, 0, v9, s2
	v_cndmask_b32_e64 v14, 0, -1, vcc_lo
	v_cmp_le_u32_e32 vcc_lo, s13, v9
	v_cndmask_b32_e64 v15, 0, -1, vcc_lo
	v_cmp_le_u32_e32 vcc_lo, s12, v11
	v_cndmask_b32_e64 v11, 0, -1, vcc_lo
	v_cmp_le_u32_e32 vcc_lo, s13, v18
	v_cndmask_b32_e64 v19, 0, -1, vcc_lo
	v_cmp_eq_u32_e32 vcc_lo, s13, v9
	v_cndmask_b32_e32 v9, v15, v14, vcc_lo
	v_cmp_eq_u32_e32 vcc_lo, s13, v18
	v_add_nc_u64_e32 v[14:15], 2, v[12:13]
	v_cndmask_b32_e32 v11, v19, v11, vcc_lo
	s_delay_alu instid0(VALU_DEP_4) | instskip(NEXT) | instid1(VALU_DEP_2)
	v_cmp_ne_u32_e32 vcc_lo, 0, v9
	v_cmp_ne_u32_e64 s2, 0, v11
	s_delay_alu instid0(VALU_DEP_4) | instskip(NEXT) | instid1(VALU_DEP_1)
	v_dual_cndmask_b32 v9, v17, v15, vcc_lo :: v_dual_cndmask_b32 v11, v16, v14, vcc_lo
	v_dual_cndmask_b32 v12, v12, v11, s2 :: v_dual_mov_b32 v11, v10
	s_delay_alu instid0(VALU_DEP_1) | instskip(NEXT) | instid1(VALU_DEP_1)
	v_dual_cndmask_b32 v9, v13, v9, s2 :: v_dual_bitop2_b32 v12, v12, v10 bitop3:0x14
	v_xor_b32_e32 v13, v9, v10
	s_delay_alu instid0(VALU_DEP_1)
	v_sub_nc_u64_e32 v[10:11], v[12:13], v[10:11]
.LBB7_11:
	s_and_not1_saveexec_b32 s2, s3
	s_cbranch_execz .LBB7_13
; %bb.12:
	v_cvt_f32_u32_e32 v9, s10
	s_sub_co_i32 s3, 0, s10
	s_delay_alu instid0(VALU_DEP_1) | instskip(SKIP_1) | instid1(TRANS32_DEP_1)
	v_rcp_iflag_f32_e32 v9, v9
	v_nop
	v_mul_f32_e32 v9, 0x4f7ffffe, v9
	s_delay_alu instid0(VALU_DEP_1) | instskip(NEXT) | instid1(VALU_DEP_1)
	v_cvt_u32_f32_e32 v9, v9
	v_mul_lo_u32 v10, s3, v9
	s_delay_alu instid0(VALU_DEP_1) | instskip(NEXT) | instid1(VALU_DEP_1)
	v_mul_hi_u32 v10, v9, v10
	v_add_nc_u32_e32 v9, v9, v10
	s_delay_alu instid0(VALU_DEP_1) | instskip(NEXT) | instid1(VALU_DEP_1)
	v_mul_hi_u32 v9, v6, v9
	v_mul_lo_u32 v10, v9, s10
	s_delay_alu instid0(VALU_DEP_1) | instskip(NEXT) | instid1(VALU_DEP_1)
	v_dual_add_nc_u32 v11, 1, v9 :: v_dual_sub_nc_u32 v10, v6, v10
	v_subrev_nc_u32_e32 v12, s10, v10
	v_cmp_le_u32_e32 vcc_lo, s10, v10
	s_delay_alu instid0(VALU_DEP_2) | instskip(NEXT) | instid1(VALU_DEP_1)
	v_dual_cndmask_b32 v10, v10, v12 :: v_dual_cndmask_b32 v9, v9, v11
	v_cmp_le_u32_e32 vcc_lo, s10, v10
	s_delay_alu instid0(VALU_DEP_2) | instskip(NEXT) | instid1(VALU_DEP_1)
	v_add_nc_u32_e32 v11, 1, v9
	v_dual_cndmask_b32 v10, v9, v11 :: v_dual_mov_b32 v11, 0
.LBB7_13:
	s_or_b32 exec_lo, exec_lo, s2
	s_load_b512 s[36:51], s[0:1], 0x40
                                        ; implicit-def: $vgpr12_vgpr13
	s_mov_b32 s2, exec_lo
	v_mov_b32_e32 v14, 0
	s_wait_kmcnt 0x0
	s_mul_u64 s[8:9], s[42:43], s[40:41]
	s_delay_alu instid0(SALU_CYCLE_1) | instskip(NEXT) | instid1(SALU_CYCLE_1)
	s_mul_u64 s[12:13], s[8:9], s[44:45]
	v_or_b32_e32 v15, s13, v5
	s_delay_alu instid0(VALU_DEP_1)
	v_cmpx_ne_u64_e32 0, v[14:15]
	s_xor_b32 s3, exec_lo, s2
	s_cbranch_execz .LBB7_15
; %bb.14:
	s_ashr_i32 s14, s13, 31
	s_mov_b32 s29, 0
	s_mov_b32 s15, s14
	v_dual_mov_b32 v9, v8 :: v_dual_mov_b32 v17, v14
	s_add_nc_u64 s[20:21], s[12:13], s[14:15]
	v_mov_b32_e32 v15, v14
	s_xor_b64 s[20:21], s[20:21], s[14:15]
	s_delay_alu instid0(VALU_DEP_2) | instskip(SKIP_4) | instid1(SALU_CYCLE_1)
	v_add_nc_u64_e32 v[12:13], v[4:5], v[8:9]
	s_cvt_f32_u32 s2, s20
	s_cvt_f32_u32 s15, s21
	s_sub_nc_u64 s[24:25], 0, s[20:21]
	v_dual_mov_b32 v19, v14 :: v_dual_mov_b32 v25, v14
	s_fmamk_f32 s2, s15, 0x4f800000, s2
	s_delay_alu instid0(VALU_DEP_2) | instskip(SKIP_3) | instid1(TRANS32_DEP_1)
	v_xor_b32_e32 v16, v12, v8
	v_xor_b32_e32 v18, v13, v8
	;; [unrolled: 1-line block ×3, first 2 shown]
	v_s_rcp_f32 s2, s2
	s_mul_f32 s2, s2, 0x5f7ffffc
	s_delay_alu instid0(SALU_CYCLE_3) | instskip(NEXT) | instid1(SALU_CYCLE_3)
	s_mul_f32 s15, s2, 0x2f800000
	s_trunc_f32 s15, s15
	s_delay_alu instid0(SALU_CYCLE_3) | instskip(SKIP_1) | instid1(SALU_CYCLE_2)
	s_fmamk_f32 s2, s15, 0xcf800000, s2
	s_cvt_u32_f32 s23, s15
	s_cvt_u32_f32 s22, s2
	s_delay_alu instid0(SALU_CYCLE_3) | instskip(NEXT) | instid1(SALU_CYCLE_1)
	s_mul_u64 s[26:27], s[24:25], s[22:23]
	s_mul_hi_u32 s31, s22, s27
	s_mul_i32 s30, s22, s27
	s_mul_hi_u32 s28, s22, s26
	s_mul_i32 s15, s23, s26
	s_add_nc_u64 s[30:31], s[28:29], s[30:31]
	s_mul_hi_u32 s2, s23, s26
	s_mul_hi_u32 s33, s23, s27
	s_add_co_u32 s15, s30, s15
	s_add_co_ci_u32 s28, s31, s2
	s_mul_i32 s26, s23, s27
	s_add_co_ci_u32 s27, s33, 0
	s_delay_alu instid0(SALU_CYCLE_1) | instskip(NEXT) | instid1(SALU_CYCLE_1)
	s_add_nc_u64 s[26:27], s[28:29], s[26:27]
	s_add_co_u32 s22, s22, s26
	s_cselect_b32 s2, -1, 0
	s_delay_alu instid0(SALU_CYCLE_1) | instskip(SKIP_1) | instid1(SALU_CYCLE_1)
	s_cmp_lg_u32 s2, 0
	s_add_co_ci_u32 s23, s23, s27
	s_mul_u64 s[24:25], s[24:25], s[22:23]
	s_delay_alu instid0(SALU_CYCLE_1)
	s_mul_hi_u32 s27, s22, s25
	s_mul_i32 s26, s22, s25
	s_mul_hi_u32 s28, s22, s24
	s_mul_i32 s15, s23, s24
	s_add_nc_u64 s[26:27], s[28:29], s[26:27]
	s_mul_hi_u32 s2, s23, s24
	s_mul_hi_u32 s30, s23, s25
	s_add_co_u32 s15, s26, s15
	s_add_co_ci_u32 s28, s27, s2
	s_mul_i32 s24, s23, s25
	s_add_co_ci_u32 s25, s30, 0
	s_delay_alu instid0(SALU_CYCLE_1) | instskip(NEXT) | instid1(SALU_CYCLE_1)
	s_add_nc_u64 s[24:25], s[28:29], s[24:25]
	s_add_co_u32 s2, s22, s24
	s_cselect_b32 s15, -1, 0
	v_nop
	v_mul_hi_u32 v24, v16, s2
	s_cmp_lg_u32 s15, 0
	s_add_co_ci_u32 s28, s23, s25
	s_mov_b64 s[22:23], 0xffffffff
	v_mul_u64_e32 v[20:21], s[28:29], v[16:17]
	s_and_b64 s[22:23], s[2:3], s[22:23]
	v_mul_u64_e32 v[22:23], s[28:29], v[18:19]
	v_mul_u64_e32 v[12:13], s[22:23], v[18:19]
	s_delay_alu instid0(VALU_DEP_3) | instskip(NEXT) | instid1(VALU_DEP_1)
	v_add_nc_u64_e32 v[20:21], v[24:25], v[20:21]
	v_add_co_u32 v9, vcc_lo, v20, v12
	s_delay_alu instid0(VALU_DEP_2) | instskip(SKIP_1) | instid1(VALU_DEP_1)
	v_add_co_ci_u32_e32 v14, vcc_lo, v21, v13, vcc_lo
	v_add_co_ci_u32_e32 v23, vcc_lo, 0, v23, vcc_lo
	v_add_nc_u64_e32 v[12:13], v[14:15], v[22:23]
	s_delay_alu instid0(VALU_DEP_1) | instskip(NEXT) | instid1(VALU_DEP_1)
	v_mul_u64_e32 v[14:15], s[20:21], v[12:13]
	v_sub_nc_u32_e32 v9, v18, v15
	s_delay_alu instid0(VALU_DEP_2) | instskip(NEXT) | instid1(VALU_DEP_1)
	v_sub_co_u32 v14, vcc_lo, v16, v14
	v_sub_co_ci_u32_e64 v18, null, v18, v15, vcc_lo
	s_delay_alu instid0(VALU_DEP_3) | instskip(NEXT) | instid1(VALU_DEP_3)
	v_subrev_co_ci_u32_e64 v9, null, s21, v9, vcc_lo
	v_sub_co_u32 v16, s2, v14, s20
	s_delay_alu instid0(VALU_DEP_1) | instskip(NEXT) | instid1(VALU_DEP_2)
	v_subrev_co_ci_u32_e64 v9, null, 0, v9, s2
	v_cmp_le_u32_e32 vcc_lo, s20, v16
	v_cndmask_b32_e64 v15, 0, -1, vcc_lo
	s_delay_alu instid0(VALU_DEP_3)
	v_cmp_le_u32_e32 vcc_lo, s21, v9
	v_cndmask_b32_e64 v16, 0, -1, vcc_lo
	v_cmp_le_u32_e32 vcc_lo, s20, v14
	v_cndmask_b32_e64 v19, 0, -1, vcc_lo
	;; [unrolled: 2-line block ×3, first 2 shown]
	v_cmp_eq_u32_e32 vcc_lo, s21, v9
	v_cndmask_b32_e32 v9, v16, v15, vcc_lo
	v_cmp_eq_u32_e32 vcc_lo, s21, v18
	v_add_nc_u64_e32 v[14:15], 2, v[12:13]
	v_add_nc_u64_e32 v[16:17], 1, v[12:13]
	v_cndmask_b32_e32 v18, v20, v19, vcc_lo
	v_cmp_ne_u32_e32 vcc_lo, 0, v9
	s_delay_alu instid0(VALU_DEP_2) | instskip(NEXT) | instid1(VALU_DEP_4)
	v_cmp_ne_u32_e64 s2, 0, v18
	v_dual_cndmask_b32 v14, v16, v14 :: v_dual_cndmask_b32 v9, v17, v15
	s_delay_alu instid0(VALU_DEP_1) | instskip(SKIP_1) | instid1(VALU_DEP_2)
	v_dual_cndmask_b32 v12, v12, v14, s2 :: v_dual_cndmask_b32 v13, v13, v9, s2
	v_mov_b32_e32 v9, v8
	v_xor_b32_e32 v12, v12, v8
	s_delay_alu instid0(VALU_DEP_3) | instskip(NEXT) | instid1(VALU_DEP_1)
	v_xor_b32_e32 v13, v13, v8
	v_sub_nc_u64_e32 v[12:13], v[12:13], v[8:9]
.LBB7_15:
	s_and_not1_saveexec_b32 s2, s3
	s_cbranch_execz .LBB7_17
; %bb.16:
	v_cvt_f32_u32_e32 v8, s12
	s_sub_co_i32 s3, 0, s12
	s_delay_alu instid0(VALU_DEP_1) | instskip(SKIP_1) | instid1(TRANS32_DEP_1)
	v_rcp_iflag_f32_e32 v8, v8
	v_nop
	v_mul_f32_e32 v8, 0x4f7ffffe, v8
	s_delay_alu instid0(VALU_DEP_1) | instskip(NEXT) | instid1(VALU_DEP_1)
	v_cvt_u32_f32_e32 v8, v8
	v_mul_lo_u32 v9, s3, v8
	s_delay_alu instid0(VALU_DEP_1) | instskip(NEXT) | instid1(VALU_DEP_1)
	v_mul_hi_u32 v9, v8, v9
	v_add_nc_u32_e32 v8, v8, v9
	s_delay_alu instid0(VALU_DEP_1) | instskip(NEXT) | instid1(VALU_DEP_1)
	v_mul_hi_u32 v8, v4, v8
	v_mul_lo_u32 v9, v8, s12
	s_delay_alu instid0(VALU_DEP_1) | instskip(NEXT) | instid1(VALU_DEP_1)
	v_sub_nc_u32_e32 v9, v4, v9
	v_subrev_nc_u32_e32 v13, s12, v9
	v_cmp_le_u32_e32 vcc_lo, s12, v9
	s_delay_alu instid0(VALU_DEP_2) | instskip(NEXT) | instid1(VALU_DEP_1)
	v_dual_cndmask_b32 v9, v9, v13 :: v_dual_add_nc_u32 v12, 1, v8
	v_dual_cndmask_b32 v8, v8, v12 :: v_dual_mov_b32 v13, 0
	s_delay_alu instid0(VALU_DEP_2) | instskip(NEXT) | instid1(VALU_DEP_2)
	v_cmp_le_u32_e32 vcc_lo, s12, v9
	v_add_nc_u32_e32 v12, 1, v8
	s_delay_alu instid0(VALU_DEP_1)
	v_cndmask_b32_e32 v12, v8, v12, vcc_lo
.LBB7_17:
	s_or_b32 exec_lo, exec_lo, s2
	s_delay_alu instid0(VALU_DEP_1) | instskip(SKIP_2) | instid1(VALU_DEP_2)
	v_mul_u64_e32 v[8:9], s[12:13], v[12:13]
	s_mov_b32 s2, exec_lo
	v_mov_b32_e32 v14, 0
	v_sub_nc_u64_e32 v[8:9], v[4:5], v[8:9]
                                        ; implicit-def: $vgpr4_vgpr5
	s_delay_alu instid0(VALU_DEP_1) | instskip(NEXT) | instid1(VALU_DEP_1)
	v_or_b32_e32 v15, s9, v9
	v_cmpx_ne_u64_e32 0, v[14:15]
	s_xor_b32 s3, exec_lo, s2
	s_cbranch_execz .LBB7_19
; %bb.18:
	s_ashr_i32 s12, s9, 31
	s_mov_b32 s27, 0
	s_mov_b32 s13, s12
	v_dual_mov_b32 v19, v14 :: v_dual_ashrrev_i32 v4, 31, v9
	s_add_nc_u64 s[14:15], s[8:9], s[12:13]
	v_mov_b32_e32 v21, v14
	s_xor_b64 s[14:15], s[14:15], s[12:13]
	s_delay_alu instid0(VALU_DEP_2)
	v_mov_b32_e32 v5, v4
	s_cvt_f32_u32 s2, s14
	s_cvt_f32_u32 s13, s15
	s_sub_nc_u64 s[22:23], 0, s[14:15]
	v_mov_b32_e32 v27, v14
	v_add_nc_u64_e32 v[16:17], v[8:9], v[4:5]
	s_fmamk_f32 s2, s13, 0x4f800000, s2
	v_mov_b32_e32 v15, v14
	s_delay_alu instid0(SALU_CYCLE_2) | instskip(NEXT) | instid1(VALU_DEP_2)
	v_s_rcp_f32 s2, s2
	v_xor_b32_e32 v18, v16, v4
	s_delay_alu instid0(VALU_DEP_3) | instskip(SKIP_1) | instid1(TRANS32_DEP_1)
	v_xor_b32_e32 v20, v17, v4
	v_xor_b32_e32 v4, s12, v4
	s_mul_f32 s2, s2, 0x5f7ffffc
	s_delay_alu instid0(SALU_CYCLE_3) | instskip(NEXT) | instid1(SALU_CYCLE_3)
	s_mul_f32 s13, s2, 0x2f800000
	s_trunc_f32 s13, s13
	s_delay_alu instid0(SALU_CYCLE_3) | instskip(SKIP_1) | instid1(SALU_CYCLE_2)
	s_fmamk_f32 s2, s13, 0xcf800000, s2
	s_cvt_u32_f32 s21, s13
	s_cvt_u32_f32 s20, s2
	s_delay_alu instid0(SALU_CYCLE_3) | instskip(NEXT) | instid1(SALU_CYCLE_1)
	s_mul_u64 s[24:25], s[22:23], s[20:21]
	s_mul_hi_u32 s29, s20, s25
	s_mul_i32 s28, s20, s25
	s_mul_hi_u32 s26, s20, s24
	s_mul_i32 s13, s21, s24
	s_add_nc_u64 s[28:29], s[26:27], s[28:29]
	s_mul_hi_u32 s2, s21, s24
	s_mul_hi_u32 s30, s21, s25
	s_add_co_u32 s13, s28, s13
	s_add_co_ci_u32 s26, s29, s2
	s_mul_i32 s24, s21, s25
	s_add_co_ci_u32 s25, s30, 0
	s_delay_alu instid0(SALU_CYCLE_1) | instskip(NEXT) | instid1(SALU_CYCLE_1)
	s_add_nc_u64 s[24:25], s[26:27], s[24:25]
	s_add_co_u32 s20, s20, s24
	s_cselect_b32 s2, -1, 0
	s_delay_alu instid0(SALU_CYCLE_1) | instskip(SKIP_1) | instid1(SALU_CYCLE_1)
	s_cmp_lg_u32 s2, 0
	s_add_co_ci_u32 s21, s21, s25
	s_mul_u64 s[22:23], s[22:23], s[20:21]
	s_delay_alu instid0(SALU_CYCLE_1)
	s_mul_hi_u32 s25, s20, s23
	s_mul_i32 s24, s20, s23
	s_mul_hi_u32 s26, s20, s22
	s_mul_i32 s13, s21, s22
	s_add_nc_u64 s[24:25], s[26:27], s[24:25]
	s_mul_hi_u32 s2, s21, s22
	s_mul_hi_u32 s28, s21, s23
	s_add_co_u32 s13, s24, s13
	s_add_co_ci_u32 s26, s25, s2
	s_mul_i32 s22, s21, s23
	s_add_co_ci_u32 s23, s28, 0
	s_delay_alu instid0(SALU_CYCLE_1) | instskip(NEXT) | instid1(SALU_CYCLE_1)
	s_add_nc_u64 s[22:23], s[26:27], s[22:23]
	s_add_co_u32 s2, s20, s22
	s_cselect_b32 s13, -1, 0
	v_mul_hi_u32 v26, v18, s2
	s_cmp_lg_u32 s13, 0
	s_add_co_ci_u32 s26, s21, s23
	s_mov_b64 s[20:21], 0xffffffff
	v_mul_u64_e32 v[22:23], s[26:27], v[18:19]
	s_and_b64 s[20:21], s[2:3], s[20:21]
	v_mul_u64_e32 v[24:25], s[26:27], v[20:21]
	v_mul_u64_e32 v[16:17], s[20:21], v[20:21]
	s_delay_alu instid0(VALU_DEP_3) | instskip(NEXT) | instid1(VALU_DEP_1)
	v_add_nc_u64_e32 v[22:23], v[26:27], v[22:23]
	v_add_co_u32 v5, vcc_lo, v22, v16
	s_delay_alu instid0(VALU_DEP_2) | instskip(SKIP_1) | instid1(VALU_DEP_1)
	v_add_co_ci_u32_e32 v14, vcc_lo, v23, v17, vcc_lo
	v_add_co_ci_u32_e32 v25, vcc_lo, 0, v25, vcc_lo
	v_add_nc_u64_e32 v[14:15], v[14:15], v[24:25]
	s_delay_alu instid0(VALU_DEP_1) | instskip(NEXT) | instid1(VALU_DEP_1)
	v_mul_u64_e32 v[16:17], s[14:15], v[14:15]
	v_sub_nc_u32_e32 v5, v20, v17
	s_delay_alu instid0(VALU_DEP_2) | instskip(NEXT) | instid1(VALU_DEP_1)
	v_sub_co_u32 v16, vcc_lo, v18, v16
	v_sub_co_ci_u32_e64 v20, null, v20, v17, vcc_lo
	s_delay_alu instid0(VALU_DEP_3) | instskip(NEXT) | instid1(VALU_DEP_3)
	v_subrev_co_ci_u32_e64 v5, null, s15, v5, vcc_lo
	v_sub_co_u32 v18, s2, v16, s14
	s_delay_alu instid0(VALU_DEP_1) | instskip(NEXT) | instid1(VALU_DEP_2)
	v_subrev_co_ci_u32_e64 v5, null, 0, v5, s2
	v_cmp_le_u32_e32 vcc_lo, s14, v18
	v_cndmask_b32_e64 v17, 0, -1, vcc_lo
	s_delay_alu instid0(VALU_DEP_3)
	v_cmp_le_u32_e32 vcc_lo, s15, v5
	v_cndmask_b32_e64 v18, 0, -1, vcc_lo
	v_cmp_le_u32_e32 vcc_lo, s14, v16
	v_cndmask_b32_e64 v21, 0, -1, vcc_lo
	;; [unrolled: 2-line block ×3, first 2 shown]
	v_cmp_eq_u32_e32 vcc_lo, s15, v5
	v_cndmask_b32_e32 v5, v18, v17, vcc_lo
	v_cmp_eq_u32_e32 vcc_lo, s15, v20
	v_add_nc_u64_e32 v[16:17], 2, v[14:15]
	v_add_nc_u64_e32 v[18:19], 1, v[14:15]
	v_cndmask_b32_e32 v20, v22, v21, vcc_lo
	v_cmp_ne_u32_e32 vcc_lo, 0, v5
	s_delay_alu instid0(VALU_DEP_2) | instskip(NEXT) | instid1(VALU_DEP_4)
	v_cmp_ne_u32_e64 s2, 0, v20
	v_dual_cndmask_b32 v16, v18, v16 :: v_dual_cndmask_b32 v5, v19, v17
	s_delay_alu instid0(VALU_DEP_1) | instskip(NEXT) | instid1(VALU_DEP_1)
	v_dual_cndmask_b32 v14, v14, v16, s2 :: v_dual_cndmask_b32 v15, v15, v5, s2
	v_dual_mov_b32 v5, v4 :: v_dual_bitop2_b32 v14, v14, v4 bitop3:0x14
	s_delay_alu instid0(VALU_DEP_2) | instskip(NEXT) | instid1(VALU_DEP_1)
	v_xor_b32_e32 v15, v15, v4
	v_sub_nc_u64_e32 v[4:5], v[14:15], v[4:5]
.LBB7_19:
	s_and_not1_saveexec_b32 s2, s3
	s_cbranch_execz .LBB7_21
; %bb.20:
	v_cvt_f32_u32_e32 v4, s8
	s_sub_co_i32 s3, 0, s8
	s_delay_alu instid0(VALU_DEP_1) | instskip(SKIP_1) | instid1(TRANS32_DEP_1)
	v_rcp_iflag_f32_e32 v4, v4
	v_nop
	v_mul_f32_e32 v4, 0x4f7ffffe, v4
	s_delay_alu instid0(VALU_DEP_1) | instskip(NEXT) | instid1(VALU_DEP_1)
	v_cvt_u32_f32_e32 v4, v4
	v_mul_lo_u32 v5, s3, v4
	s_delay_alu instid0(VALU_DEP_1) | instskip(NEXT) | instid1(VALU_DEP_1)
	v_mul_hi_u32 v5, v4, v5
	v_add_nc_u32_e32 v4, v4, v5
	s_delay_alu instid0(VALU_DEP_1) | instskip(NEXT) | instid1(VALU_DEP_1)
	v_mul_hi_u32 v4, v8, v4
	v_mul_lo_u32 v5, v4, s8
	s_delay_alu instid0(VALU_DEP_1) | instskip(NEXT) | instid1(VALU_DEP_1)
	v_dual_add_nc_u32 v14, 1, v4 :: v_dual_sub_nc_u32 v5, v8, v5
	v_subrev_nc_u32_e32 v15, s8, v5
	v_cmp_le_u32_e32 vcc_lo, s8, v5
	s_delay_alu instid0(VALU_DEP_2) | instskip(NEXT) | instid1(VALU_DEP_1)
	v_dual_cndmask_b32 v5, v5, v15 :: v_dual_cndmask_b32 v4, v4, v14
	v_cmp_le_u32_e32 vcc_lo, s8, v5
	s_delay_alu instid0(VALU_DEP_2) | instskip(NEXT) | instid1(VALU_DEP_1)
	v_dual_mov_b32 v5, 0 :: v_dual_add_nc_u32 v14, 1, v4
	v_cndmask_b32_e32 v4, v4, v14, vcc_lo
.LBB7_21:
	s_or_b32 exec_lo, exec_lo, s2
	s_delay_alu instid0(VALU_DEP_1) | instskip(SKIP_1) | instid1(VALU_DEP_1)
	v_mul_u64_e32 v[14:15], s[8:9], v[4:5]
                                        ; implicit-def: $vgpr16_vgpr17
	s_mov_b32 s2, exec_lo
	v_sub_nc_u64_e32 v[8:9], v[8:9], v[14:15]
	s_delay_alu instid0(VALU_DEP_1) | instskip(NEXT) | instid1(VALU_DEP_1)
	v_dual_mov_b32 v14, 0 :: v_dual_bitop2_b32 v15, s41, v9 bitop3:0x54
	v_cmpx_ne_u64_e32 0, v[14:15]
	s_xor_b32 s3, exec_lo, s2
	s_cbranch_execz .LBB7_23
; %bb.22:
	s_ashr_i32 s8, s41, 31
	s_mov_b32 s25, 0
	s_mov_b32 s9, s8
	v_dual_mov_b32 v21, v14 :: v_dual_ashrrev_i32 v16, 31, v9
	s_add_nc_u64 s[12:13], s[40:41], s[8:9]
	v_dual_mov_b32 v29, v14 :: v_dual_mov_b32 v15, v14
	s_xor_b64 s[12:13], s[12:13], s[8:9]
	s_delay_alu instid0(VALU_DEP_2) | instskip(SKIP_3) | instid1(VALU_DEP_1)
	v_mov_b32_e32 v17, v16
	s_cvt_f32_u32 s2, s12
	s_cvt_f32_u32 s9, s13
	s_sub_nc_u64 s[20:21], 0, s[12:13]
	v_add_nc_u64_e32 v[18:19], v[8:9], v[16:17]
	s_delay_alu instid0(SALU_CYCLE_1) | instskip(SKIP_1) | instid1(SALU_CYCLE_2)
	s_fmamk_f32 s2, s9, 0x4f800000, s2
	v_mov_b32_e32 v23, v14
	v_s_rcp_f32 s2, s2
	s_delay_alu instid0(VALU_DEP_2) | instskip(NEXT) | instid1(VALU_DEP_3)
	v_xor_b32_e32 v20, v18, v16
	v_xor_b32_e32 v22, v19, v16
	;; [unrolled: 1-line block ×3, first 2 shown]
	s_delay_alu instid0(TRANS32_DEP_1) | instskip(NEXT) | instid1(SALU_CYCLE_3)
	s_mul_f32 s2, s2, 0x5f7ffffc
	s_mul_f32 s9, s2, 0x2f800000
	s_delay_alu instid0(SALU_CYCLE_3) | instskip(NEXT) | instid1(SALU_CYCLE_3)
	s_trunc_f32 s9, s9
	s_fmamk_f32 s2, s9, 0xcf800000, s2
	s_cvt_u32_f32 s15, s9
	s_delay_alu instid0(SALU_CYCLE_2) | instskip(NEXT) | instid1(SALU_CYCLE_3)
	s_cvt_u32_f32 s14, s2
	s_mul_u64 s[22:23], s[20:21], s[14:15]
	s_delay_alu instid0(SALU_CYCLE_1)
	s_mul_hi_u32 s27, s14, s23
	s_mul_i32 s26, s14, s23
	s_mul_hi_u32 s24, s14, s22
	s_mul_i32 s9, s15, s22
	s_add_nc_u64 s[26:27], s[24:25], s[26:27]
	s_mul_hi_u32 s2, s15, s22
	s_mul_hi_u32 s28, s15, s23
	s_add_co_u32 s9, s26, s9
	s_add_co_ci_u32 s24, s27, s2
	s_mul_i32 s22, s15, s23
	s_add_co_ci_u32 s23, s28, 0
	s_delay_alu instid0(SALU_CYCLE_1) | instskip(NEXT) | instid1(SALU_CYCLE_1)
	s_add_nc_u64 s[22:23], s[24:25], s[22:23]
	s_add_co_u32 s14, s14, s22
	s_cselect_b32 s2, -1, 0
	s_delay_alu instid0(SALU_CYCLE_1) | instskip(SKIP_1) | instid1(SALU_CYCLE_1)
	s_cmp_lg_u32 s2, 0
	s_add_co_ci_u32 s15, s15, s23
	s_mul_u64 s[20:21], s[20:21], s[14:15]
	s_delay_alu instid0(SALU_CYCLE_1)
	s_mul_hi_u32 s23, s14, s21
	s_mul_i32 s22, s14, s21
	s_mul_hi_u32 s24, s14, s20
	s_mul_i32 s9, s15, s20
	s_add_nc_u64 s[22:23], s[24:25], s[22:23]
	s_mul_hi_u32 s2, s15, s20
	s_mul_hi_u32 s26, s15, s21
	s_add_co_u32 s9, s22, s9
	s_add_co_ci_u32 s24, s23, s2
	s_mul_i32 s20, s15, s21
	s_add_co_ci_u32 s21, s26, 0
	s_delay_alu instid0(SALU_CYCLE_1) | instskip(NEXT) | instid1(SALU_CYCLE_1)
	s_add_nc_u64 s[20:21], s[24:25], s[20:21]
	s_add_co_u32 s2, s14, s20
	s_cselect_b32 s9, -1, 0
	v_mul_hi_u32 v28, v20, s2
	s_cmp_lg_u32 s9, 0
	s_add_co_ci_u32 s24, s15, s21
	s_mov_b64 s[14:15], 0xffffffff
	v_mul_u64_e32 v[24:25], s[24:25], v[20:21]
	s_and_b64 s[14:15], s[2:3], s[14:15]
	v_mul_u64_e32 v[26:27], s[24:25], v[22:23]
	v_mul_u64_e32 v[18:19], s[14:15], v[22:23]
	s_delay_alu instid0(VALU_DEP_3) | instskip(NEXT) | instid1(VALU_DEP_1)
	v_add_nc_u64_e32 v[24:25], v[28:29], v[24:25]
	v_add_co_u32 v14, vcc_lo, v24, v18
	s_delay_alu instid0(VALU_DEP_2) | instskip(SKIP_1) | instid1(VALU_DEP_1)
	v_add_co_ci_u32_e32 v14, vcc_lo, v25, v19, vcc_lo
	v_add_co_ci_u32_e32 v27, vcc_lo, 0, v27, vcc_lo
	v_add_nc_u64_e32 v[14:15], v[14:15], v[26:27]
	s_delay_alu instid0(VALU_DEP_1) | instskip(NEXT) | instid1(VALU_DEP_1)
	v_mul_u64_e32 v[18:19], s[12:13], v[14:15]
	v_sub_nc_u32_e32 v17, v22, v19
	s_delay_alu instid0(VALU_DEP_2) | instskip(NEXT) | instid1(VALU_DEP_1)
	v_sub_co_u32 v18, vcc_lo, v20, v18
	v_sub_co_ci_u32_e64 v22, null, v22, v19, vcc_lo
	s_delay_alu instid0(VALU_DEP_3) | instskip(NEXT) | instid1(VALU_DEP_3)
	v_subrev_co_ci_u32_e64 v17, null, s13, v17, vcc_lo
	v_sub_co_u32 v20, s2, v18, s12
	s_delay_alu instid0(VALU_DEP_1) | instskip(NEXT) | instid1(VALU_DEP_2)
	v_subrev_co_ci_u32_e64 v17, null, 0, v17, s2
	v_cmp_le_u32_e32 vcc_lo, s12, v20
	v_cndmask_b32_e64 v19, 0, -1, vcc_lo
	s_delay_alu instid0(VALU_DEP_3)
	v_cmp_le_u32_e32 vcc_lo, s13, v17
	v_cndmask_b32_e64 v20, 0, -1, vcc_lo
	v_cmp_le_u32_e32 vcc_lo, s12, v18
	v_cndmask_b32_e64 v23, 0, -1, vcc_lo
	;; [unrolled: 2-line block ×3, first 2 shown]
	v_cmp_eq_u32_e32 vcc_lo, s13, v17
	v_cndmask_b32_e32 v17, v20, v19, vcc_lo
	v_cmp_eq_u32_e32 vcc_lo, s13, v22
	v_add_nc_u64_e32 v[18:19], 2, v[14:15]
	v_add_nc_u64_e32 v[20:21], 1, v[14:15]
	v_cndmask_b32_e32 v22, v24, v23, vcc_lo
	v_cmp_ne_u32_e32 vcc_lo, 0, v17
	s_delay_alu instid0(VALU_DEP_2) | instskip(NEXT) | instid1(VALU_DEP_4)
	v_cmp_ne_u32_e64 s2, 0, v22
	v_dual_cndmask_b32 v18, v20, v18 :: v_dual_cndmask_b32 v17, v21, v19
	s_delay_alu instid0(VALU_DEP_1) | instskip(NEXT) | instid1(VALU_DEP_1)
	v_dual_cndmask_b32 v14, v14, v18, s2 :: v_dual_cndmask_b32 v15, v15, v17, s2
	v_dual_mov_b32 v17, v16 :: v_dual_bitop2_b32 v14, v14, v16 bitop3:0x14
	s_delay_alu instid0(VALU_DEP_2) | instskip(NEXT) | instid1(VALU_DEP_1)
	v_xor_b32_e32 v15, v15, v16
	v_sub_nc_u64_e32 v[16:17], v[14:15], v[16:17]
.LBB7_23:
	s_and_not1_saveexec_b32 s2, s3
	s_cbranch_execz .LBB7_25
; %bb.24:
	v_cvt_f32_u32_e32 v14, s40
	s_sub_co_i32 s3, 0, s40
	s_delay_alu instid0(VALU_DEP_1) | instskip(SKIP_1) | instid1(TRANS32_DEP_1)
	v_rcp_iflag_f32_e32 v14, v14
	v_nop
	v_mul_f32_e32 v14, 0x4f7ffffe, v14
	s_delay_alu instid0(VALU_DEP_1) | instskip(NEXT) | instid1(VALU_DEP_1)
	v_cvt_u32_f32_e32 v14, v14
	v_mul_lo_u32 v15, s3, v14
	s_delay_alu instid0(VALU_DEP_1) | instskip(NEXT) | instid1(VALU_DEP_1)
	v_mul_hi_u32 v15, v14, v15
	v_add_nc_u32_e32 v14, v14, v15
	s_delay_alu instid0(VALU_DEP_1) | instskip(NEXT) | instid1(VALU_DEP_1)
	v_mul_hi_u32 v14, v8, v14
	v_mul_lo_u32 v15, v14, s40
	s_delay_alu instid0(VALU_DEP_1) | instskip(NEXT) | instid1(VALU_DEP_1)
	v_dual_add_nc_u32 v16, 1, v14 :: v_dual_sub_nc_u32 v15, v8, v15
	v_subrev_nc_u32_e32 v17, s40, v15
	v_cmp_le_u32_e32 vcc_lo, s40, v15
	s_delay_alu instid0(VALU_DEP_2) | instskip(NEXT) | instid1(VALU_DEP_4)
	v_dual_cndmask_b32 v15, v15, v17, vcc_lo :: v_dual_mov_b32 v17, 0
	v_cndmask_b32_e32 v14, v14, v16, vcc_lo
	s_delay_alu instid0(VALU_DEP_2) | instskip(NEXT) | instid1(VALU_DEP_2)
	v_cmp_le_u32_e32 vcc_lo, s40, v15
	v_add_nc_u32_e32 v16, 1, v14
	s_delay_alu instid0(VALU_DEP_1)
	v_cndmask_b32_e32 v16, v14, v16, vcc_lo
.LBB7_25:
	s_or_b32 exec_lo, exec_lo, s2
	v_mul_u64_e32 v[14:15], s[10:11], v[10:11]
	s_load_b64 s[0:1], s[0:1], 0x80
	s_delay_alu instid0(VALU_DEP_1) | instskip(NEXT) | instid1(VALU_DEP_1)
	v_sub_nc_u64_e32 v[6:7], v[6:7], v[14:15]
	v_dual_mov_b32 v15, 0 :: v_dual_ashrrev_i32 v14, 31, v7
	s_delay_alu instid0(VALU_DEP_1) | instskip(NEXT) | instid1(VALU_DEP_1)
	v_lshrrev_b32_e32 v14, 27, v14
	v_add_nc_u64_e32 v[6:7], v[6:7], v[14:15]
	s_delay_alu instid0(VALU_DEP_1) | instskip(NEXT) | instid1(VALU_DEP_1)
	v_ashrrev_i64 v[6:7], 5, v[6:7]
	v_mad_nc_u64_u32 v[14:15], v6, s16, s[4:5]
	s_delay_alu instid0(VALU_DEP_1) | instskip(NEXT) | instid1(VALU_DEP_1)
	v_mad_u32 v7, v7, s16, v15
	v_mad_u32 v15, v6, s17, v7
	s_delay_alu instid0(VALU_DEP_1) | instskip(NEXT) | instid1(VALU_DEP_1)
	v_mad_nc_u64_u32 v[6:7], v10, s18, v[14:15]
	v_mad_u32 v7, v11, s18, v7
	s_delay_alu instid0(VALU_DEP_1) | instskip(NEXT) | instid1(VALU_DEP_1)
	v_mad_u32 v7, v10, s19, v7
	v_mad_nc_u64_u32 v[6:7], v2, s36, v[6:7]
	s_delay_alu instid0(VALU_DEP_1) | instskip(NEXT) | instid1(VALU_DEP_1)
	v_mad_u32 v3, v3, s36, v7
	v_mad_u32 v7, v2, s37, v3
	s_delay_alu instid0(VALU_DEP_1) | instskip(NEXT) | instid1(VALU_DEP_1)
	v_mad_nc_u64_u32 v[2:3], v0, s38, v[6:7]
	v_mad_u32 v1, v1, s38, v3
	s_delay_alu instid0(VALU_DEP_1)
	v_mad_u32 v3, v0, s39, v1
	v_mul_u64_e32 v[0:1], s[40:41], v[16:17]
	s_clause 0x2
	global_load_u8 v10, v[2:3], off offset:6
	global_load_b32 v11, v[2:3], off
	global_load_u16 v14, v[2:3], off offset:4
	v_sub_nc_u64_e32 v[0:1], v[8:9], v[0:1]
	s_delay_alu instid0(VALU_DEP_1) | instskip(NEXT) | instid1(VALU_DEP_1)
	v_mad_nc_u64_u32 v[6:7], v0, s46, s[6:7]
	v_mad_u32 v1, v1, s46, v7
	s_delay_alu instid0(VALU_DEP_1) | instskip(NEXT) | instid1(VALU_DEP_1)
	v_mad_u32 v7, v0, s47, v1
	v_mad_nc_u64_u32 v[0:1], v16, s48, v[6:7]
	s_delay_alu instid0(VALU_DEP_1) | instskip(NEXT) | instid1(VALU_DEP_1)
	v_mad_u32 v1, v17, s48, v1
	v_mad_u32 v1, v16, s49, v1
	s_delay_alu instid0(VALU_DEP_1) | instskip(NEXT) | instid1(VALU_DEP_1)
	v_mad_nc_u64_u32 v[0:1], v4, s50, v[0:1]
	v_mad_u32 v1, v5, s50, v1
	s_delay_alu instid0(VALU_DEP_1) | instskip(SKIP_1) | instid1(VALU_DEP_1)
	v_mad_u32 v1, v4, s51, v1
	s_wait_kmcnt 0x0
	v_mad_nc_u64_u32 v[0:1], v12, s0, v[0:1]
	s_delay_alu instid0(VALU_DEP_1) | instskip(NEXT) | instid1(VALU_DEP_1)
	v_mad_u32 v1, v13, s0, v1
	v_mad_u32 v1, v12, s1, v1
	s_wait_loadcnt 0x2
	v_lshrrev_b16 v4, 4, v10
	s_wait_loadcnt 0x0
	v_dual_lshrrev_b32 v5, 12, v11 :: v_dual_lshlrev_b32 v6, 4, v14
	s_delay_alu instid0(VALU_DEP_2) | instskip(NEXT) | instid1(VALU_DEP_2)
	v_or_b32_e32 v4, -16, v4
	v_and_b32_e32 v6, 16, v6
	s_delay_alu instid0(VALU_DEP_2) | instskip(NEXT) | instid1(VALU_DEP_1)
	v_bfe_i32 v4, v4, 0, 16
	v_dual_add_nc_u32 v4, v6, v4 :: v_dual_bitop2_b32 v7, -16, v10 bitop3:0x54
	v_cvt_f32_f16_e32 v6, v11
	s_delay_alu instid0(VALU_DEP_2) | instskip(NEXT) | instid1(VALU_DEP_1)
	v_cvt_f32_i32_e32 v4, v4
	v_dual_mul_f32 v4, v6, v4 :: v_dual_bitop2_b32 v5, 16, v5 bitop3:0x40
	s_delay_alu instid0(VALU_DEP_1) | instskip(NEXT) | instid1(VALU_DEP_1)
	v_add_nc_u32_e32 v5, v7, v5
	v_cvt_f32_i32_e32 v5, v5
	s_delay_alu instid0(VALU_DEP_1)
	v_mul_f32_e32 v5, v6, v5
	s_clause 0x1
	global_store_b32 v[0:1], v5, off
	global_store_b32 v[0:1], v4, off offset:64
	s_clause 0x2
	global_load_u8 v4, v[2:3], off offset:7
	global_load_b32 v5, v[2:3], off
	global_load_u16 v6, v[2:3], off offset:4
	s_wait_loadcnt 0x2
	v_lshrrev_b16 v7, 4, v4
	s_wait_loadcnt 0x0
	v_dual_lshrrev_b32 v8, 13, v5 :: v_dual_lshlrev_b32 v6, 3, v6
	v_cvt_f32_f16_e32 v5, v5
	s_delay_alu instid0(VALU_DEP_3) | instskip(NEXT) | instid1(VALU_DEP_3)
	v_or_b32_e32 v7, -16, v7
	v_and_b32_e32 v6, 16, v6
	s_delay_alu instid0(VALU_DEP_2) | instskip(NEXT) | instid1(VALU_DEP_1)
	v_bfe_i32 v7, v7, 0, 16
	v_dual_add_nc_u32 v6, v6, v7 :: v_dual_bitop2_b32 v4, -16, v4 bitop3:0x54
	s_delay_alu instid0(VALU_DEP_1) | instskip(SKIP_1) | instid1(VALU_DEP_1)
	v_cvt_f32_i32_e32 v6, v6
	v_and_b32_e32 v8, 16, v8
	v_add_nc_u32_e32 v4, v4, v8
	s_delay_alu instid0(VALU_DEP_1) | instskip(NEXT) | instid1(VALU_DEP_1)
	v_cvt_f32_i32_e32 v4, v4
	v_dual_mul_f32 v4, v5, v4 :: v_dual_mul_f32 v5, v5, v6
	s_clause 0x1
	global_store_b32 v[0:1], v4, off offset:4
	global_store_b32 v[0:1], v5, off offset:68
	s_clause 0x2
	global_load_u8 v4, v[2:3], off offset:8
	global_load_b32 v5, v[2:3], off
	global_load_u16 v6, v[2:3], off offset:4
	s_wait_loadcnt 0x2
	v_lshrrev_b16 v7, 4, v4
	s_wait_loadcnt 0x0
	v_dual_lshrrev_b32 v8, 14, v5 :: v_dual_lshlrev_b32 v6, 2, v6
	v_cvt_f32_f16_e32 v5, v5
	s_delay_alu instid0(VALU_DEP_3) | instskip(NEXT) | instid1(VALU_DEP_3)
	v_or_b32_e32 v7, -16, v7
	v_and_b32_e32 v6, 16, v6
	s_delay_alu instid0(VALU_DEP_2) | instskip(NEXT) | instid1(VALU_DEP_1)
	v_bfe_i32 v7, v7, 0, 16
	v_dual_add_nc_u32 v6, v6, v7 :: v_dual_bitop2_b32 v4, -16, v4 bitop3:0x54
	s_delay_alu instid0(VALU_DEP_1) | instskip(SKIP_1) | instid1(VALU_DEP_1)
	v_cvt_f32_i32_e32 v6, v6
	v_and_b32_e32 v8, 16, v8
	v_add_nc_u32_e32 v4, v4, v8
	s_delay_alu instid0(VALU_DEP_1) | instskip(NEXT) | instid1(VALU_DEP_1)
	v_cvt_f32_i32_e32 v4, v4
	v_dual_mul_f32 v4, v5, v4 :: v_dual_mul_f32 v5, v5, v6
	s_clause 0x1
	global_store_b32 v[0:1], v4, off offset:8
	;; [unrolled: 25-line block ×3, first 2 shown]
	global_store_b32 v[0:1], v5, off offset:76
	s_clause 0x2
	global_load_u8 v4, v[2:3], off offset:10
	global_load_b32 v5, v[2:3], off
	global_load_u16 v6, v[2:3], off offset:4
	s_wait_loadcnt 0x2
	v_lshrrev_b16 v7, 4, v4
	s_wait_loadcnt 0x1
	v_dual_lshrrev_b32 v8, 16, v5 :: v_dual_bitop2_b32 v4, -16, v4 bitop3:0x54
	v_cvt_f32_f16_e32 v5, v5
	s_delay_alu instid0(VALU_DEP_2) | instskip(SKIP_1) | instid1(VALU_DEP_1)
	v_and_b32_e32 v8, 16, v8
	s_wait_loadcnt 0x0
	v_dual_add_nc_u32 v4, v4, v8 :: v_dual_bitop2_b32 v6, 16, v6 bitop3:0x40
	s_delay_alu instid0(VALU_DEP_1) | instskip(NEXT) | instid1(VALU_DEP_2)
	v_and_b32_e32 v6, 0xffff, v6
	v_cvt_f32_i32_e32 v4, v4
	s_delay_alu instid0(VALU_DEP_1) | instskip(NEXT) | instid1(VALU_DEP_1)
	v_dual_mul_f32 v4, v5, v4 :: v_dual_bitop2_b32 v7, -16, v7 bitop3:0x54
	v_bfe_i32 v7, v7, 0, 16
	s_delay_alu instid0(VALU_DEP_1) | instskip(NEXT) | instid1(VALU_DEP_1)
	v_add_nc_u32_e32 v6, v7, v6
	v_cvt_f32_i32_e32 v6, v6
	s_delay_alu instid0(VALU_DEP_1)
	v_mul_f32_e32 v5, v5, v6
	s_clause 0x1
	global_store_b32 v[0:1], v4, off offset:16
	global_store_b32 v[0:1], v5, off offset:80
	s_clause 0x2
	global_load_u8 v4, v[2:3], off offset:11
	global_load_b32 v5, v[2:3], off
	global_load_u16 v6, v[2:3], off offset:4
	s_wait_loadcnt 0x2
	v_lshrrev_b16 v8, 4, v4
	s_wait_loadcnt 0x0
	v_lshrrev_b16 v6, 1, v6
	v_lshrrev_b32_e32 v7, 17, v5
	v_cvt_f32_f16_e32 v5, v5
	v_or_b32_e32 v4, -16, v4
	v_or_b32_e32 v8, -16, v8
	v_and_b32_e32 v6, 16, v6
	s_delay_alu instid0(VALU_DEP_2) | instskip(NEXT) | instid1(VALU_DEP_2)
	v_bfe_i32 v8, v8, 0, 16
	v_and_b32_e32 v6, 0xffff, v6
	s_delay_alu instid0(VALU_DEP_1) | instskip(NEXT) | instid1(VALU_DEP_1)
	v_dual_add_nc_u32 v6, v8, v6 :: v_dual_bitop2_b32 v7, 16, v7 bitop3:0x40
	v_and_b32_e32 v7, 0xffff, v7
	s_delay_alu instid0(VALU_DEP_2) | instskip(NEXT) | instid1(VALU_DEP_2)
	v_cvt_f32_i32_e32 v6, v6
	v_add_nc_u32_e32 v4, v4, v7
	s_delay_alu instid0(VALU_DEP_1) | instskip(NEXT) | instid1(VALU_DEP_1)
	v_cvt_f32_i32_e32 v4, v4
	v_dual_mul_f32 v4, v5, v4 :: v_dual_mul_f32 v5, v5, v6
	s_clause 0x1
	global_store_b32 v[0:1], v4, off offset:20
	global_store_b32 v[0:1], v5, off offset:84
	s_clause 0x2
	global_load_u8 v4, v[2:3], off offset:12
	global_load_b32 v5, v[2:3], off
	global_load_u16 v6, v[2:3], off offset:4
	s_wait_loadcnt 0x2
	v_lshrrev_b16 v8, 4, v4
	s_wait_loadcnt 0x1
	v_lshrrev_b32_e32 v7, 18, v5
	s_wait_loadcnt 0x0
	v_lshrrev_b16 v6, 2, v6
	v_or_b32_e32 v4, -16, v4
	v_cvt_f32_f16_e32 v5, v5
	v_or_b32_e32 v8, -16, v8
	s_delay_alu instid0(VALU_DEP_4) | instskip(NEXT) | instid1(VALU_DEP_2)
	v_and_b32_e32 v6, 16, v6
	v_bfe_i32 v8, v8, 0, 16
	s_delay_alu instid0(VALU_DEP_2) | instskip(NEXT) | instid1(VALU_DEP_1)
	v_and_b32_e32 v6, 0xffff, v6
	v_dual_add_nc_u32 v6, v8, v6 :: v_dual_bitop2_b32 v7, 16, v7 bitop3:0x40
	s_delay_alu instid0(VALU_DEP_1) | instskip(NEXT) | instid1(VALU_DEP_2)
	v_and_b32_e32 v7, 0xffff, v7
	v_cvt_f32_i32_e32 v6, v6
	s_delay_alu instid0(VALU_DEP_2) | instskip(NEXT) | instid1(VALU_DEP_1)
	v_add_nc_u32_e32 v4, v4, v7
	v_cvt_f32_i32_e32 v4, v4
	s_delay_alu instid0(VALU_DEP_1)
	v_dual_mul_f32 v4, v5, v4 :: v_dual_mul_f32 v5, v5, v6
	s_clause 0x1
	global_store_b32 v[0:1], v4, off offset:24
	global_store_b32 v[0:1], v5, off offset:88
	s_clause 0x2
	global_load_u8 v4, v[2:3], off offset:13
	global_load_b32 v5, v[2:3], off
	global_load_u16 v6, v[2:3], off offset:4
	s_wait_loadcnt 0x2
	v_lshrrev_b16 v8, 4, v4
	s_wait_loadcnt 0x1
	v_lshrrev_b32_e32 v7, 19, v5
	s_wait_loadcnt 0x0
	v_lshrrev_b16 v6, 3, v6
	v_cvt_f32_f16_e32 v5, v5
	v_or_b32_e32 v8, -16, v8
	v_and_b32_e32 v7, 16, v7
	s_delay_alu instid0(VALU_DEP_2) | instskip(SKIP_1) | instid1(VALU_DEP_3)
	v_bfe_i32 v8, v8, 0, 16
	v_or_b32_e32 v4, -16, v4
	v_and_b32_e32 v7, 0xffff, v7
	s_delay_alu instid0(VALU_DEP_1) | instskip(NEXT) | instid1(VALU_DEP_1)
	v_dual_add_nc_u32 v4, v4, v7 :: v_dual_bitop2_b32 v6, 16, v6 bitop3:0x40
	v_and_b32_e32 v6, 0xffff, v6
	s_delay_alu instid0(VALU_DEP_2) | instskip(NEXT) | instid1(VALU_DEP_1)
	v_cvt_f32_i32_e32 v4, v4
	v_dual_add_nc_u32 v6, v8, v6 :: v_dual_mul_f32 v4, v5, v4
	s_delay_alu instid0(VALU_DEP_1) | instskip(NEXT) | instid1(VALU_DEP_1)
	v_cvt_f32_i32_e32 v6, v6
	v_mul_f32_e32 v5, v5, v6
	s_clause 0x1
	global_store_b32 v[0:1], v4, off offset:28
	global_store_b32 v[0:1], v5, off offset:92
	s_clause 0x2
	global_load_u8 v4, v[2:3], off offset:14
	global_load_b32 v5, v[2:3], off
	global_load_u16 v6, v[2:3], off offset:4
	s_wait_loadcnt 0x2
	v_lshrrev_b16 v8, 4, v4
	s_wait_loadcnt 0x1
	v_lshrrev_b32_e32 v7, 20, v5
	s_wait_loadcnt 0x0
	v_lshrrev_b16 v6, 4, v6
	v_or_b32_e32 v4, -16, v4
	v_cvt_f32_f16_e32 v5, v5
	v_or_b32_e32 v8, -16, v8
	s_delay_alu instid0(VALU_DEP_4) | instskip(NEXT) | instid1(VALU_DEP_2)
	v_and_b32_e32 v6, 16, v6
	v_bfe_i32 v8, v8, 0, 16
	s_delay_alu instid0(VALU_DEP_2) | instskip(NEXT) | instid1(VALU_DEP_1)
	v_and_b32_e32 v6, 0xffff, v6
	v_dual_add_nc_u32 v6, v8, v6 :: v_dual_bitop2_b32 v7, 16, v7 bitop3:0x40
	s_delay_alu instid0(VALU_DEP_1) | instskip(NEXT) | instid1(VALU_DEP_2)
	v_and_b32_e32 v7, 0xffff, v7
	v_cvt_f32_i32_e32 v6, v6
	s_delay_alu instid0(VALU_DEP_2) | instskip(NEXT) | instid1(VALU_DEP_1)
	v_add_nc_u32_e32 v4, v4, v7
	v_cvt_f32_i32_e32 v4, v4
	s_delay_alu instid0(VALU_DEP_1)
	v_dual_mul_f32 v4, v5, v4 :: v_dual_mul_f32 v5, v5, v6
	s_clause 0x1
	global_store_b32 v[0:1], v4, off offset:32
	global_store_b32 v[0:1], v5, off offset:96
	s_clause 0x2
	global_load_u8 v4, v[2:3], off offset:15
	global_load_b32 v5, v[2:3], off
	global_load_u16 v6, v[2:3], off offset:4
	s_wait_loadcnt 0x2
	v_lshrrev_b16 v8, 4, v4
	s_wait_loadcnt 0x1
	v_lshrrev_b32_e32 v7, 21, v5
	s_wait_loadcnt 0x0
	v_lshrrev_b16 v6, 5, v6
	v_cvt_f32_f16_e32 v5, v5
	v_or_b32_e32 v8, -16, v8
	v_and_b32_e32 v7, 16, v7
	s_delay_alu instid0(VALU_DEP_2) | instskip(SKIP_1) | instid1(VALU_DEP_3)
	v_bfe_i32 v8, v8, 0, 16
	v_or_b32_e32 v4, -16, v4
	v_and_b32_e32 v7, 0xffff, v7
	s_delay_alu instid0(VALU_DEP_1) | instskip(NEXT) | instid1(VALU_DEP_1)
	v_dual_add_nc_u32 v4, v4, v7 :: v_dual_bitop2_b32 v6, 16, v6 bitop3:0x40
	v_and_b32_e32 v6, 0xffff, v6
	s_delay_alu instid0(VALU_DEP_2) | instskip(NEXT) | instid1(VALU_DEP_1)
	v_cvt_f32_i32_e32 v4, v4
	v_dual_add_nc_u32 v6, v8, v6 :: v_dual_mul_f32 v4, v5, v4
	s_delay_alu instid0(VALU_DEP_1) | instskip(NEXT) | instid1(VALU_DEP_1)
	v_cvt_f32_i32_e32 v6, v6
	v_mul_f32_e32 v5, v5, v6
	;; [unrolled: 59-line block ×3, first 2 shown]
	s_clause 0x1
	global_store_b32 v[0:1], v4, off offset:44
	global_store_b32 v[0:1], v5, off offset:108
	s_clause 0x2
	global_load_u8 v4, v[2:3], off offset:18
	global_load_b32 v5, v[2:3], off
	global_load_u8 v6, v[2:3], off offset:5
	s_wait_loadcnt 0x2
	v_lshrrev_b16 v8, 4, v4
	s_wait_loadcnt 0x1
	v_lshrrev_b32_e32 v7, 24, v5
	v_cvt_f32_f16_e32 v5, v5
	v_or_b32_e32 v4, -16, v4
	v_or_b32_e32 v8, -16, v8
	s_delay_alu instid0(VALU_DEP_1) | instskip(SKIP_1) | instid1(VALU_DEP_1)
	v_bfe_i32 v8, v8, 0, 16
	v_and_b32_e32 v7, 16, v7
	v_and_b32_e32 v7, 0xffff, v7
	s_wait_loadcnt 0x0
	s_delay_alu instid0(VALU_DEP_1) | instskip(NEXT) | instid1(VALU_DEP_1)
	v_dual_add_nc_u32 v4, v4, v7 :: v_dual_bitop2_b32 v6, 16, v6 bitop3:0x40
	v_and_b32_e32 v6, 0xffff, v6
	s_delay_alu instid0(VALU_DEP_2) | instskip(NEXT) | instid1(VALU_DEP_1)
	v_cvt_f32_i32_e32 v4, v4
	v_dual_add_nc_u32 v6, v8, v6 :: v_dual_mul_f32 v4, v5, v4
	s_delay_alu instid0(VALU_DEP_1) | instskip(NEXT) | instid1(VALU_DEP_1)
	v_cvt_f32_i32_e32 v6, v6
	v_mul_f32_e32 v5, v5, v6
	s_clause 0x1
	global_store_b32 v[0:1], v4, off offset:48
	global_store_b32 v[0:1], v5, off offset:112
	s_clause 0x2
	global_load_u8 v4, v[2:3], off offset:19
	global_load_b32 v5, v[2:3], off
	global_load_u16 v6, v[2:3], off offset:4
	s_wait_loadcnt 0x2
	v_lshrrev_b16 v8, 4, v4
	s_wait_loadcnt 0x1
	v_lshrrev_b32_e32 v7, 25, v5
	s_wait_loadcnt 0x0
	v_lshrrev_b16 v6, 9, v6
	v_cvt_f32_f16_e32 v5, v5
	v_or_b32_e32 v8, -16, v8
	v_and_b32_e32 v7, 16, v7
	s_delay_alu instid0(VALU_DEP_2) | instskip(SKIP_1) | instid1(VALU_DEP_3)
	v_bfe_i32 v8, v8, 0, 16
	v_or_b32_e32 v4, -16, v4
	v_and_b32_e32 v7, 0xffff, v7
	s_delay_alu instid0(VALU_DEP_1) | instskip(NEXT) | instid1(VALU_DEP_1)
	v_dual_add_nc_u32 v4, v4, v7 :: v_dual_bitop2_b32 v6, 16, v6 bitop3:0x40
	v_and_b32_e32 v6, 0xffff, v6
	s_delay_alu instid0(VALU_DEP_2) | instskip(NEXT) | instid1(VALU_DEP_1)
	v_cvt_f32_i32_e32 v4, v4
	v_dual_add_nc_u32 v6, v8, v6 :: v_dual_mul_f32 v4, v5, v4
	s_delay_alu instid0(VALU_DEP_1) | instskip(NEXT) | instid1(VALU_DEP_1)
	v_cvt_f32_i32_e32 v6, v6
	v_mul_f32_e32 v5, v5, v6
	s_clause 0x1
	global_store_b32 v[0:1], v4, off offset:52
	global_store_b32 v[0:1], v5, off offset:116
	s_clause 0x2
	global_load_u8 v4, v[2:3], off offset:20
	global_load_b32 v5, v[2:3], off
	global_load_u16 v6, v[2:3], off offset:4
	s_wait_loadcnt 0x2
	v_lshrrev_b16 v8, 4, v4
	s_wait_loadcnt 0x1
	v_lshrrev_b32_e32 v7, 26, v5
	s_wait_loadcnt 0x0
	v_lshrrev_b16 v6, 10, v6
	v_or_b32_e32 v4, -16, v4
	v_cvt_f32_f16_e32 v5, v5
	v_or_b32_e32 v8, -16, v8
	s_delay_alu instid0(VALU_DEP_4) | instskip(NEXT) | instid1(VALU_DEP_2)
	v_and_b32_e32 v6, 16, v6
	v_bfe_i32 v8, v8, 0, 16
	s_delay_alu instid0(VALU_DEP_2) | instskip(NEXT) | instid1(VALU_DEP_1)
	v_and_b32_e32 v6, 0xffff, v6
	v_dual_add_nc_u32 v6, v8, v6 :: v_dual_bitop2_b32 v7, 16, v7 bitop3:0x40
	s_delay_alu instid0(VALU_DEP_1) | instskip(NEXT) | instid1(VALU_DEP_2)
	v_and_b32_e32 v7, 0xffff, v7
	v_cvt_f32_i32_e32 v6, v6
	s_delay_alu instid0(VALU_DEP_2) | instskip(NEXT) | instid1(VALU_DEP_1)
	v_add_nc_u32_e32 v4, v4, v7
	v_cvt_f32_i32_e32 v4, v4
	s_delay_alu instid0(VALU_DEP_1)
	v_dual_mul_f32 v4, v5, v4 :: v_dual_mul_f32 v5, v5, v6
	s_clause 0x1
	global_store_b32 v[0:1], v4, off offset:56
	global_store_b32 v[0:1], v5, off offset:120
	s_clause 0x2
	global_load_u8 v4, v[2:3], off offset:21
	global_load_b32 v5, v[2:3], off
	global_load_u16 v6, v[2:3], off offset:4
	s_wait_loadcnt 0x1
	s_wait_xcnt 0x0
	v_lshrrev_b32_e32 v2, 27, v5
	s_wait_loadcnt 0x0
	v_lshrrev_b16 v3, 11, v6
	v_lshrrev_b16 v6, 4, v4
	v_or_b32_e32 v4, -16, v4
	v_and_b32_e32 v2, 16, v2
	s_delay_alu instid0(VALU_DEP_1) | instskip(NEXT) | instid1(VALU_DEP_1)
	v_and_b32_e32 v2, 0xffff, v2
	v_dual_add_nc_u32 v2, v4, v2 :: v_dual_bitop2_b32 v3, 16, v3 bitop3:0x40
	v_cvt_f32_f16_e32 v4, v5
	v_or_b32_e32 v6, -16, v6
	s_delay_alu instid0(VALU_DEP_3) | instskip(NEXT) | instid1(VALU_DEP_4)
	v_and_b32_e32 v3, 0xffff, v3
	v_cvt_f32_i32_e32 v2, v2
	s_delay_alu instid0(VALU_DEP_3) | instskip(NEXT) | instid1(VALU_DEP_1)
	v_bfe_i32 v6, v6, 0, 16
	v_dual_mul_f32 v2, v4, v2 :: v_dual_add_nc_u32 v3, v6, v3
	s_delay_alu instid0(VALU_DEP_1) | instskip(NEXT) | instid1(VALU_DEP_1)
	v_cvt_f32_i32_e32 v3, v3
	v_mul_f32_e32 v3, v4, v3
	s_clause 0x1
	global_store_b32 v[0:1], v2, off offset:60
	global_store_b32 v[0:1], v3, off offset:124
.LBB7_26:
	s_endpgm
	.section	.rodata,"a",@progbits
	.p2align	6, 0x0
	.amdhsa_kernel _ZL9cpy_q_f32IXadL_ZL14cpy_blck_q_f32IXadL_ZL15dequantize_q5_0PKvliR15HIP_vector_typeIfLj2EEEELi32EEvPKcPcEELi32EEvS7_S8_lllllllllllllll
		.amdhsa_group_segment_fixed_size 0
		.amdhsa_private_segment_fixed_size 0
		.amdhsa_kernarg_size 392
		.amdhsa_user_sgpr_count 2
		.amdhsa_user_sgpr_dispatch_ptr 0
		.amdhsa_user_sgpr_queue_ptr 0
		.amdhsa_user_sgpr_kernarg_segment_ptr 1
		.amdhsa_user_sgpr_dispatch_id 0
		.amdhsa_user_sgpr_kernarg_preload_length 0
		.amdhsa_user_sgpr_kernarg_preload_offset 0
		.amdhsa_user_sgpr_private_segment_size 0
		.amdhsa_wavefront_size32 1
		.amdhsa_uses_dynamic_stack 0
		.amdhsa_enable_private_segment 0
		.amdhsa_system_sgpr_workgroup_id_x 1
		.amdhsa_system_sgpr_workgroup_id_y 0
		.amdhsa_system_sgpr_workgroup_id_z 0
		.amdhsa_system_sgpr_workgroup_info 0
		.amdhsa_system_vgpr_workitem_id 0
		.amdhsa_next_free_vgpr 30
		.amdhsa_next_free_sgpr 52
		.amdhsa_named_barrier_count 0
		.amdhsa_reserve_vcc 1
		.amdhsa_float_round_mode_32 0
		.amdhsa_float_round_mode_16_64 0
		.amdhsa_float_denorm_mode_32 3
		.amdhsa_float_denorm_mode_16_64 3
		.amdhsa_fp16_overflow 0
		.amdhsa_memory_ordered 1
		.amdhsa_forward_progress 1
		.amdhsa_inst_pref_size 63
		.amdhsa_round_robin_scheduling 0
		.amdhsa_exception_fp_ieee_invalid_op 0
		.amdhsa_exception_fp_denorm_src 0
		.amdhsa_exception_fp_ieee_div_zero 0
		.amdhsa_exception_fp_ieee_overflow 0
		.amdhsa_exception_fp_ieee_underflow 0
		.amdhsa_exception_fp_ieee_inexact 0
		.amdhsa_exception_int_div_zero 0
	.end_amdhsa_kernel
	.section	.text._ZL9cpy_q_f32IXadL_ZL14cpy_blck_q_f32IXadL_ZL15dequantize_q5_0PKvliR15HIP_vector_typeIfLj2EEEELi32EEvPKcPcEELi32EEvS7_S8_lllllllllllllll,"axG",@progbits,_ZL9cpy_q_f32IXadL_ZL14cpy_blck_q_f32IXadL_ZL15dequantize_q5_0PKvliR15HIP_vector_typeIfLj2EEEELi32EEvPKcPcEELi32EEvS7_S8_lllllllllllllll,comdat
.Lfunc_end7:
	.size	_ZL9cpy_q_f32IXadL_ZL14cpy_blck_q_f32IXadL_ZL15dequantize_q5_0PKvliR15HIP_vector_typeIfLj2EEEELi32EEvPKcPcEELi32EEvS7_S8_lllllllllllllll, .Lfunc_end7-_ZL9cpy_q_f32IXadL_ZL14cpy_blck_q_f32IXadL_ZL15dequantize_q5_0PKvliR15HIP_vector_typeIfLj2EEEELi32EEvPKcPcEELi32EEvS7_S8_lllllllllllllll
                                        ; -- End function
	.set _ZL9cpy_q_f32IXadL_ZL14cpy_blck_q_f32IXadL_ZL15dequantize_q5_0PKvliR15HIP_vector_typeIfLj2EEEELi32EEvPKcPcEELi32EEvS7_S8_lllllllllllllll.num_vgpr, 30
	.set _ZL9cpy_q_f32IXadL_ZL14cpy_blck_q_f32IXadL_ZL15dequantize_q5_0PKvliR15HIP_vector_typeIfLj2EEEELi32EEvPKcPcEELi32EEvS7_S8_lllllllllllllll.num_agpr, 0
	.set _ZL9cpy_q_f32IXadL_ZL14cpy_blck_q_f32IXadL_ZL15dequantize_q5_0PKvliR15HIP_vector_typeIfLj2EEEELi32EEvPKcPcEELi32EEvS7_S8_lllllllllllllll.numbered_sgpr, 52
	.set _ZL9cpy_q_f32IXadL_ZL14cpy_blck_q_f32IXadL_ZL15dequantize_q5_0PKvliR15HIP_vector_typeIfLj2EEEELi32EEvPKcPcEELi32EEvS7_S8_lllllllllllllll.num_named_barrier, 0
	.set _ZL9cpy_q_f32IXadL_ZL14cpy_blck_q_f32IXadL_ZL15dequantize_q5_0PKvliR15HIP_vector_typeIfLj2EEEELi32EEvPKcPcEELi32EEvS7_S8_lllllllllllllll.private_seg_size, 0
	.set _ZL9cpy_q_f32IXadL_ZL14cpy_blck_q_f32IXadL_ZL15dequantize_q5_0PKvliR15HIP_vector_typeIfLj2EEEELi32EEvPKcPcEELi32EEvS7_S8_lllllllllllllll.uses_vcc, 1
	.set _ZL9cpy_q_f32IXadL_ZL14cpy_blck_q_f32IXadL_ZL15dequantize_q5_0PKvliR15HIP_vector_typeIfLj2EEEELi32EEvPKcPcEELi32EEvS7_S8_lllllllllllllll.uses_flat_scratch, 0
	.set _ZL9cpy_q_f32IXadL_ZL14cpy_blck_q_f32IXadL_ZL15dequantize_q5_0PKvliR15HIP_vector_typeIfLj2EEEELi32EEvPKcPcEELi32EEvS7_S8_lllllllllllllll.has_dyn_sized_stack, 0
	.set _ZL9cpy_q_f32IXadL_ZL14cpy_blck_q_f32IXadL_ZL15dequantize_q5_0PKvliR15HIP_vector_typeIfLj2EEEELi32EEvPKcPcEELi32EEvS7_S8_lllllllllllllll.has_recursion, 0
	.set _ZL9cpy_q_f32IXadL_ZL14cpy_blck_q_f32IXadL_ZL15dequantize_q5_0PKvliR15HIP_vector_typeIfLj2EEEELi32EEvPKcPcEELi32EEvS7_S8_lllllllllllllll.has_indirect_call, 0
	.section	.AMDGPU.csdata,"",@progbits
; Kernel info:
; codeLenInByte = 7972
; TotalNumSgprs: 54
; NumVgprs: 30
; ScratchSize: 0
; MemoryBound: 0
; FloatMode: 240
; IeeeMode: 1
; LDSByteSize: 0 bytes/workgroup (compile time only)
; SGPRBlocks: 0
; VGPRBlocks: 1
; NumSGPRsForWavesPerEU: 54
; NumVGPRsForWavesPerEU: 30
; NamedBarCnt: 0
; Occupancy: 16
; WaveLimiterHint : 0
; COMPUTE_PGM_RSRC2:SCRATCH_EN: 0
; COMPUTE_PGM_RSRC2:USER_SGPR: 2
; COMPUTE_PGM_RSRC2:TRAP_HANDLER: 0
; COMPUTE_PGM_RSRC2:TGID_X_EN: 1
; COMPUTE_PGM_RSRC2:TGID_Y_EN: 0
; COMPUTE_PGM_RSRC2:TGID_Z_EN: 0
; COMPUTE_PGM_RSRC2:TIDIG_COMP_CNT: 0
	.section	.text._ZL9cpy_f32_qIXadL_ZL17cpy_blck_f32_q5_1PKcPcEELi32EEvS1_S2_lllllllllllllll,"axG",@progbits,_ZL9cpy_f32_qIXadL_ZL17cpy_blck_f32_q5_1PKcPcEELi32EEvS1_S2_lllllllllllllll,comdat
	.globl	_ZL9cpy_f32_qIXadL_ZL17cpy_blck_f32_q5_1PKcPcEELi32EEvS1_S2_lllllllllllllll ; -- Begin function _ZL9cpy_f32_qIXadL_ZL17cpy_blck_f32_q5_1PKcPcEELi32EEvS1_S2_lllllllllllllll
	.p2align	8
	.type	_ZL9cpy_f32_qIXadL_ZL17cpy_blck_f32_q5_1PKcPcEELi32EEvS1_S2_lllllllllllllll,@function
_ZL9cpy_f32_qIXadL_ZL17cpy_blck_f32_q5_1PKcPcEELi32EEvS1_S2_lllllllllllllll: ; @_ZL9cpy_f32_qIXadL_ZL17cpy_blck_f32_q5_1PKcPcEELi32EEvS1_S2_lllllllllllllll
; %bb.0:
	s_load_b32 s2, s[0:1], 0x94
	s_bfe_u32 s3, ttmp6, 0x4000c
	v_mov_b32_e32 v4, 0
	s_add_co_i32 s3, s3, 1
	s_and_b32 s4, ttmp6, 15
	s_mul_i32 s3, ttmp9, s3
	s_getreg_b32 s5, hwreg(HW_REG_IB_STS2, 6, 4)
	v_mov_b32_e32 v1, v4
	s_add_co_i32 s3, s4, s3
	s_wait_kmcnt 0x0
	s_and_b32 s2, s2, 0xffff
	s_cmp_eq_u32 s5, 0
	s_load_b512 s[4:19], s[0:1], 0x0
	s_cselect_b32 s3, ttmp9, s3
	s_delay_alu instid0(SALU_CYCLE_1) | instskip(SKIP_1) | instid1(VALU_DEP_1)
	v_mad_nc_u64_u32 v[0:1], s2, s3, v[0:1]
	s_mov_b32 s2, exec_lo
	v_lshlrev_b64_e32 v[2:3], 5, v[0:1]
	s_wait_kmcnt 0x0
	s_delay_alu instid0(VALU_DEP_1)
	v_cmpx_gt_i64_e64 s[8:9], v[2:3]
	s_cbranch_execz .LBB8_28
; %bb.1:
	s_mul_u64 s[8:9], s[12:13], s[10:11]
                                        ; implicit-def: $vgpr8_vgpr9
	s_mov_b32 s2, exec_lo
	s_mul_u64 s[12:13], s[8:9], s[14:15]
	s_delay_alu instid0(SALU_CYCLE_1) | instskip(NEXT) | instid1(VALU_DEP_1)
	v_dual_ashrrev_i32 v6, 31, v3 :: v_dual_bitop2_b32 v5, s13, v3 bitop3:0x54
	v_cmpx_ne_u64_e32 0, v[4:5]
	s_xor_b32 s3, exec_lo, s2
	s_cbranch_execz .LBB8_3
; %bb.2:
	s_ashr_i32 s14, s13, 31
	s_mov_b32 s29, 0
	s_mov_b32 s15, s14
	v_dual_mov_b32 v7, v6 :: v_dual_mov_b32 v5, 0
	s_add_nc_u64 s[20:21], s[12:13], s[14:15]
	s_delay_alu instid0(SALU_CYCLE_1) | instskip(NEXT) | instid1(VALU_DEP_1)
	s_xor_b64 s[20:21], s[20:21], s[14:15]
	v_add_nc_u64_e32 v[0:1], v[2:3], v[6:7]
	s_cvt_f32_u32 s2, s20
	s_cvt_f32_u32 s15, s21
	s_sub_nc_u64 s[24:25], 0, s[20:21]
	v_mov_b32_e32 v9, v5
	s_delay_alu instid0(SALU_CYCLE_1) | instskip(NEXT) | instid1(VALU_DEP_2)
	s_fmamk_f32 s2, s15, 0x4f800000, s2
	v_xor_b32_e32 v4, v0, v6
	v_xor_b32_e32 v8, v1, v6
	v_mov_b32_e32 v15, v5
	v_s_rcp_f32 s2, s2
	s_delay_alu instid0(TRANS32_DEP_1) | instskip(NEXT) | instid1(SALU_CYCLE_3)
	s_mul_f32 s2, s2, 0x5f7ffffc
	s_mul_f32 s15, s2, 0x2f800000
	s_delay_alu instid0(SALU_CYCLE_3) | instskip(NEXT) | instid1(SALU_CYCLE_3)
	s_trunc_f32 s15, s15
	s_fmamk_f32 s2, s15, 0xcf800000, s2
	s_cvt_u32_f32 s23, s15
	s_delay_alu instid0(SALU_CYCLE_2) | instskip(NEXT) | instid1(SALU_CYCLE_3)
	s_cvt_u32_f32 s22, s2
	s_mul_u64 s[26:27], s[24:25], s[22:23]
	s_delay_alu instid0(SALU_CYCLE_1)
	s_mul_hi_u32 s31, s22, s27
	s_mul_i32 s30, s22, s27
	s_mul_hi_u32 s28, s22, s26
	s_mul_i32 s15, s23, s26
	s_add_nc_u64 s[30:31], s[28:29], s[30:31]
	s_mul_hi_u32 s2, s23, s26
	s_mul_hi_u32 s33, s23, s27
	s_add_co_u32 s15, s30, s15
	s_add_co_ci_u32 s28, s31, s2
	s_mul_i32 s26, s23, s27
	s_add_co_ci_u32 s27, s33, 0
	s_delay_alu instid0(SALU_CYCLE_1) | instskip(NEXT) | instid1(SALU_CYCLE_1)
	s_add_nc_u64 s[26:27], s[28:29], s[26:27]
	s_add_co_u32 s22, s22, s26
	s_cselect_b32 s2, -1, 0
	s_delay_alu instid0(SALU_CYCLE_1) | instskip(SKIP_1) | instid1(SALU_CYCLE_1)
	s_cmp_lg_u32 s2, 0
	s_add_co_ci_u32 s23, s23, s27
	s_mul_u64 s[24:25], s[24:25], s[22:23]
	s_delay_alu instid0(SALU_CYCLE_1)
	s_mul_hi_u32 s27, s22, s25
	s_mul_i32 s26, s22, s25
	s_mul_hi_u32 s28, s22, s24
	s_mul_i32 s15, s23, s24
	s_add_nc_u64 s[26:27], s[28:29], s[26:27]
	s_mul_hi_u32 s2, s23, s24
	s_mul_hi_u32 s30, s23, s25
	s_add_co_u32 s15, s26, s15
	s_add_co_ci_u32 s28, s27, s2
	s_mul_i32 s24, s23, s25
	s_add_co_ci_u32 s25, s30, 0
	s_delay_alu instid0(SALU_CYCLE_1) | instskip(NEXT) | instid1(SALU_CYCLE_1)
	s_add_nc_u64 s[24:25], s[28:29], s[24:25]
	s_add_co_u32 s2, s22, s24
	s_cselect_b32 s15, -1, 0
	v_nop
	v_mul_hi_u32 v14, v4, s2
	s_cmp_lg_u32 s15, 0
	s_add_co_ci_u32 s28, s23, s25
	s_mov_b64 s[22:23], 0xffffffff
	v_mul_u64_e32 v[10:11], s[28:29], v[4:5]
	s_and_b64 s[22:23], s[2:3], s[22:23]
	v_mul_u64_e32 v[12:13], s[28:29], v[8:9]
	v_mul_u64_e32 v[0:1], s[22:23], v[8:9]
	s_delay_alu instid0(VALU_DEP_3) | instskip(NEXT) | instid1(VALU_DEP_1)
	v_add_nc_u64_e32 v[10:11], v[14:15], v[10:11]
	v_add_co_u32 v0, vcc_lo, v10, v0
	s_delay_alu instid0(VALU_DEP_2) | instskip(SKIP_1) | instid1(VALU_DEP_1)
	v_add_co_ci_u32_e32 v14, vcc_lo, v11, v1, vcc_lo
	v_add_co_ci_u32_e32 v13, vcc_lo, 0, v13, vcc_lo
	v_add_nc_u64_e32 v[0:1], v[14:15], v[12:13]
	s_delay_alu instid0(VALU_DEP_1) | instskip(NEXT) | instid1(VALU_DEP_1)
	v_mul_u64_e32 v[10:11], s[20:21], v[0:1]
	v_sub_nc_u32_e32 v5, v8, v11
	s_delay_alu instid0(VALU_DEP_2) | instskip(NEXT) | instid1(VALU_DEP_1)
	v_sub_co_u32 v4, vcc_lo, v4, v10
	v_sub_co_ci_u32_e64 v10, null, v8, v11, vcc_lo
	s_delay_alu instid0(VALU_DEP_3) | instskip(NEXT) | instid1(VALU_DEP_3)
	v_subrev_co_ci_u32_e64 v5, null, s21, v5, vcc_lo
	v_sub_co_u32 v7, s2, v4, s20
	s_delay_alu instid0(VALU_DEP_1) | instskip(NEXT) | instid1(VALU_DEP_2)
	v_subrev_co_ci_u32_e64 v5, null, 0, v5, s2
	v_cmp_le_u32_e32 vcc_lo, s20, v7
	v_cndmask_b32_e64 v7, 0, -1, vcc_lo
	s_delay_alu instid0(VALU_DEP_3)
	v_cmp_le_u32_e32 vcc_lo, s21, v5
	v_cndmask_b32_e64 v8, 0, -1, vcc_lo
	v_cmp_le_u32_e32 vcc_lo, s20, v4
	v_cndmask_b32_e64 v11, 0, -1, vcc_lo
	;; [unrolled: 2-line block ×3, first 2 shown]
	v_cmp_eq_u32_e32 vcc_lo, s21, v5
	v_add_nc_u64_e32 v[4:5], 2, v[0:1]
	v_cndmask_b32_e32 v7, v8, v7, vcc_lo
	v_cmp_eq_u32_e32 vcc_lo, s21, v10
	v_add_nc_u64_e32 v[8:9], 1, v[0:1]
	v_cndmask_b32_e32 v10, v12, v11, vcc_lo
	s_delay_alu instid0(VALU_DEP_4) | instskip(NEXT) | instid1(VALU_DEP_2)
	v_cmp_ne_u32_e32 vcc_lo, 0, v7
	v_cmp_ne_u32_e64 s2, 0, v10
	s_delay_alu instid0(VALU_DEP_4) | instskip(NEXT) | instid1(VALU_DEP_1)
	v_dual_cndmask_b32 v5, v9, v5, vcc_lo :: v_dual_cndmask_b32 v7, v8, v4, vcc_lo
	v_dual_cndmask_b32 v1, v1, v5, s2 :: v_dual_bitop2_b32 v4, s14, v6 bitop3:0x14
	s_delay_alu instid0(VALU_DEP_2) | instskip(NEXT) | instid1(VALU_DEP_2)
	v_cndmask_b32_e64 v0, v0, v7, s2
	v_dual_mov_b32 v5, v4 :: v_dual_bitop2_b32 v1, v1, v4 bitop3:0x14
	s_delay_alu instid0(VALU_DEP_2) | instskip(NEXT) | instid1(VALU_DEP_1)
	v_xor_b32_e32 v0, v0, v4
	v_sub_nc_u64_e32 v[8:9], v[0:1], v[4:5]
.LBB8_3:
	s_and_not1_saveexec_b32 s2, s3
	s_cbranch_execz .LBB8_5
; %bb.4:
	v_cvt_f32_u32_e32 v0, s12
	s_sub_co_i32 s3, 0, s12
	v_mov_b32_e32 v9, 0
	s_delay_alu instid0(VALU_DEP_2) | instskip(SKIP_1) | instid1(TRANS32_DEP_1)
	v_rcp_iflag_f32_e32 v0, v0
	v_nop
	v_mul_f32_e32 v0, 0x4f7ffffe, v0
	s_delay_alu instid0(VALU_DEP_1) | instskip(NEXT) | instid1(VALU_DEP_1)
	v_cvt_u32_f32_e32 v0, v0
	v_mul_lo_u32 v1, s3, v0
	s_delay_alu instid0(VALU_DEP_1) | instskip(NEXT) | instid1(VALU_DEP_1)
	v_mul_hi_u32 v1, v0, v1
	v_add_nc_u32_e32 v0, v0, v1
	s_delay_alu instid0(VALU_DEP_1) | instskip(NEXT) | instid1(VALU_DEP_1)
	v_mul_hi_u32 v0, v2, v0
	v_mul_lo_u32 v1, v0, s12
	s_delay_alu instid0(VALU_DEP_1) | instskip(NEXT) | instid1(VALU_DEP_1)
	v_sub_nc_u32_e32 v1, v2, v1
	v_subrev_nc_u32_e32 v5, s12, v1
	v_cmp_le_u32_e32 vcc_lo, s12, v1
	s_delay_alu instid0(VALU_DEP_2) | instskip(NEXT) | instid1(VALU_DEP_1)
	v_dual_cndmask_b32 v1, v1, v5 :: v_dual_add_nc_u32 v4, 1, v0
	v_cndmask_b32_e32 v0, v0, v4, vcc_lo
	s_delay_alu instid0(VALU_DEP_2) | instskip(NEXT) | instid1(VALU_DEP_2)
	v_cmp_le_u32_e32 vcc_lo, s12, v1
	v_add_nc_u32_e32 v4, 1, v0
	s_delay_alu instid0(VALU_DEP_1)
	v_cndmask_b32_e32 v8, v0, v4, vcc_lo
.LBB8_5:
	s_or_b32 exec_lo, exec_lo, s2
	s_delay_alu instid0(VALU_DEP_1) | instskip(SKIP_2) | instid1(VALU_DEP_2)
	v_mul_u64_e32 v[0:1], s[12:13], v[8:9]
	s_mov_b32 s2, exec_lo
	v_mov_b32_e32 v10, 0
	v_sub_nc_u64_e32 v[4:5], v[2:3], v[0:1]
                                        ; implicit-def: $vgpr0_vgpr1
	s_delay_alu instid0(VALU_DEP_1) | instskip(NEXT) | instid1(VALU_DEP_1)
	v_or_b32_e32 v11, s9, v5
	v_cmpx_ne_u64_e32 0, v[10:11]
	s_xor_b32 s3, exec_lo, s2
	s_cbranch_execz .LBB8_7
; %bb.6:
	s_ashr_i32 s12, s9, 31
	s_mov_b32 s27, 0
	s_mov_b32 s13, s12
	v_dual_mov_b32 v15, v10 :: v_dual_ashrrev_i32 v0, 31, v5
	s_add_nc_u64 s[14:15], s[8:9], s[12:13]
	v_mov_b32_e32 v17, v10
	s_xor_b64 s[14:15], s[14:15], s[12:13]
	s_delay_alu instid0(VALU_DEP_2)
	v_mov_b32_e32 v1, v0
	s_cvt_f32_u32 s2, s14
	s_cvt_f32_u32 s13, s15
	s_sub_nc_u64 s[22:23], 0, s[14:15]
	v_mov_b32_e32 v23, v10
	v_add_nc_u64_e32 v[12:13], v[4:5], v[0:1]
	s_fmamk_f32 s2, s13, 0x4f800000, s2
	v_mov_b32_e32 v11, v10
	s_delay_alu instid0(SALU_CYCLE_2) | instskip(NEXT) | instid1(VALU_DEP_2)
	v_s_rcp_f32 s2, s2
	v_xor_b32_e32 v14, v12, v0
	s_delay_alu instid0(VALU_DEP_3) | instskip(SKIP_1) | instid1(TRANS32_DEP_1)
	v_xor_b32_e32 v16, v13, v0
	v_xor_b32_e32 v0, s12, v0
	s_mul_f32 s2, s2, 0x5f7ffffc
	s_delay_alu instid0(SALU_CYCLE_3) | instskip(NEXT) | instid1(SALU_CYCLE_3)
	s_mul_f32 s13, s2, 0x2f800000
	s_trunc_f32 s13, s13
	s_delay_alu instid0(SALU_CYCLE_3) | instskip(SKIP_1) | instid1(SALU_CYCLE_2)
	s_fmamk_f32 s2, s13, 0xcf800000, s2
	s_cvt_u32_f32 s21, s13
	s_cvt_u32_f32 s20, s2
	s_delay_alu instid0(SALU_CYCLE_3) | instskip(NEXT) | instid1(SALU_CYCLE_1)
	s_mul_u64 s[24:25], s[22:23], s[20:21]
	s_mul_hi_u32 s29, s20, s25
	s_mul_i32 s28, s20, s25
	s_mul_hi_u32 s26, s20, s24
	s_mul_i32 s13, s21, s24
	s_add_nc_u64 s[28:29], s[26:27], s[28:29]
	s_mul_hi_u32 s2, s21, s24
	s_mul_hi_u32 s30, s21, s25
	s_add_co_u32 s13, s28, s13
	s_add_co_ci_u32 s26, s29, s2
	s_mul_i32 s24, s21, s25
	s_add_co_ci_u32 s25, s30, 0
	s_delay_alu instid0(SALU_CYCLE_1) | instskip(NEXT) | instid1(SALU_CYCLE_1)
	s_add_nc_u64 s[24:25], s[26:27], s[24:25]
	s_add_co_u32 s20, s20, s24
	s_cselect_b32 s2, -1, 0
	s_delay_alu instid0(SALU_CYCLE_1) | instskip(SKIP_1) | instid1(SALU_CYCLE_1)
	s_cmp_lg_u32 s2, 0
	s_add_co_ci_u32 s21, s21, s25
	s_mul_u64 s[22:23], s[22:23], s[20:21]
	s_delay_alu instid0(SALU_CYCLE_1)
	s_mul_hi_u32 s25, s20, s23
	s_mul_i32 s24, s20, s23
	s_mul_hi_u32 s26, s20, s22
	s_mul_i32 s13, s21, s22
	s_add_nc_u64 s[24:25], s[26:27], s[24:25]
	s_mul_hi_u32 s2, s21, s22
	s_mul_hi_u32 s28, s21, s23
	s_add_co_u32 s13, s24, s13
	s_add_co_ci_u32 s26, s25, s2
	s_mul_i32 s22, s21, s23
	s_add_co_ci_u32 s23, s28, 0
	s_delay_alu instid0(SALU_CYCLE_1) | instskip(NEXT) | instid1(SALU_CYCLE_1)
	s_add_nc_u64 s[22:23], s[26:27], s[22:23]
	s_add_co_u32 s2, s20, s22
	s_cselect_b32 s13, -1, 0
	v_mul_hi_u32 v22, v14, s2
	s_cmp_lg_u32 s13, 0
	s_add_co_ci_u32 s26, s21, s23
	s_mov_b64 s[20:21], 0xffffffff
	v_mul_u64_e32 v[18:19], s[26:27], v[14:15]
	s_and_b64 s[20:21], s[2:3], s[20:21]
	v_mul_u64_e32 v[20:21], s[26:27], v[16:17]
	v_mul_u64_e32 v[12:13], s[20:21], v[16:17]
	s_delay_alu instid0(VALU_DEP_3) | instskip(NEXT) | instid1(VALU_DEP_1)
	v_add_nc_u64_e32 v[18:19], v[22:23], v[18:19]
	v_add_co_u32 v1, vcc_lo, v18, v12
	s_delay_alu instid0(VALU_DEP_2) | instskip(SKIP_1) | instid1(VALU_DEP_1)
	v_add_co_ci_u32_e32 v10, vcc_lo, v19, v13, vcc_lo
	v_add_co_ci_u32_e32 v21, vcc_lo, 0, v21, vcc_lo
	v_add_nc_u64_e32 v[10:11], v[10:11], v[20:21]
	s_delay_alu instid0(VALU_DEP_1) | instskip(NEXT) | instid1(VALU_DEP_1)
	v_mul_u64_e32 v[12:13], s[14:15], v[10:11]
	v_sub_nc_u32_e32 v1, v16, v13
	s_delay_alu instid0(VALU_DEP_2) | instskip(NEXT) | instid1(VALU_DEP_1)
	v_sub_co_u32 v7, vcc_lo, v14, v12
	v_sub_co_ci_u32_e64 v16, null, v16, v13, vcc_lo
	s_delay_alu instid0(VALU_DEP_3) | instskip(NEXT) | instid1(VALU_DEP_3)
	v_subrev_co_ci_u32_e64 v1, null, s15, v1, vcc_lo
	v_sub_co_u32 v12, s2, v7, s14
	v_add_nc_u64_e32 v[14:15], 1, v[10:11]
	s_delay_alu instid0(VALU_DEP_3) | instskip(NEXT) | instid1(VALU_DEP_3)
	v_subrev_co_ci_u32_e64 v1, null, 0, v1, s2
	v_cmp_le_u32_e32 vcc_lo, s14, v12
	v_cndmask_b32_e64 v12, 0, -1, vcc_lo
	s_delay_alu instid0(VALU_DEP_3)
	v_cmp_le_u32_e32 vcc_lo, s15, v1
	v_cndmask_b32_e64 v13, 0, -1, vcc_lo
	v_cmp_le_u32_e32 vcc_lo, s14, v7
	v_cndmask_b32_e64 v7, 0, -1, vcc_lo
	;; [unrolled: 2-line block ×3, first 2 shown]
	v_cmp_eq_u32_e32 vcc_lo, s15, v1
	v_cndmask_b32_e32 v1, v13, v12, vcc_lo
	v_cmp_eq_u32_e32 vcc_lo, s15, v16
	v_add_nc_u64_e32 v[12:13], 2, v[10:11]
	v_cndmask_b32_e32 v7, v17, v7, vcc_lo
	s_delay_alu instid0(VALU_DEP_4) | instskip(NEXT) | instid1(VALU_DEP_2)
	v_cmp_ne_u32_e32 vcc_lo, 0, v1
	v_cmp_ne_u32_e64 s2, 0, v7
	s_delay_alu instid0(VALU_DEP_4) | instskip(NEXT) | instid1(VALU_DEP_1)
	v_dual_cndmask_b32 v1, v15, v13, vcc_lo :: v_dual_cndmask_b32 v7, v14, v12, vcc_lo
	v_dual_cndmask_b32 v11, v11, v1, s2 :: v_dual_cndmask_b32 v7, v10, v7, s2
	s_delay_alu instid0(VALU_DEP_1) | instskip(NEXT) | instid1(VALU_DEP_2)
	v_dual_mov_b32 v1, v0 :: v_dual_bitop2_b32 v11, v11, v0 bitop3:0x14
	v_xor_b32_e32 v10, v7, v0
	s_delay_alu instid0(VALU_DEP_1)
	v_sub_nc_u64_e32 v[0:1], v[10:11], v[0:1]
.LBB8_7:
	s_and_not1_saveexec_b32 s2, s3
	s_cbranch_execz .LBB8_9
; %bb.8:
	v_cvt_f32_u32_e32 v0, s8
	s_sub_co_i32 s3, 0, s8
	s_delay_alu instid0(VALU_DEP_1) | instskip(SKIP_1) | instid1(TRANS32_DEP_1)
	v_rcp_iflag_f32_e32 v0, v0
	v_nop
	v_mul_f32_e32 v0, 0x4f7ffffe, v0
	s_delay_alu instid0(VALU_DEP_1) | instskip(NEXT) | instid1(VALU_DEP_1)
	v_cvt_u32_f32_e32 v0, v0
	v_mul_lo_u32 v1, s3, v0
	s_delay_alu instid0(VALU_DEP_1) | instskip(NEXT) | instid1(VALU_DEP_1)
	v_mul_hi_u32 v1, v0, v1
	v_add_nc_u32_e32 v0, v0, v1
	s_delay_alu instid0(VALU_DEP_1) | instskip(NEXT) | instid1(VALU_DEP_1)
	v_mul_hi_u32 v0, v4, v0
	v_mul_lo_u32 v1, v0, s8
	s_delay_alu instid0(VALU_DEP_1) | instskip(NEXT) | instid1(VALU_DEP_1)
	v_dual_add_nc_u32 v7, 1, v0 :: v_dual_sub_nc_u32 v1, v4, v1
	v_subrev_nc_u32_e32 v10, s8, v1
	v_cmp_le_u32_e32 vcc_lo, s8, v1
	s_delay_alu instid0(VALU_DEP_2) | instskip(NEXT) | instid1(VALU_DEP_1)
	v_dual_cndmask_b32 v1, v1, v10 :: v_dual_cndmask_b32 v0, v0, v7
	v_cmp_le_u32_e32 vcc_lo, s8, v1
	s_delay_alu instid0(VALU_DEP_2) | instskip(NEXT) | instid1(VALU_DEP_1)
	v_dual_add_nc_u32 v7, 1, v0 :: v_dual_mov_b32 v1, 0
	v_cndmask_b32_e32 v0, v0, v7, vcc_lo
.LBB8_9:
	s_or_b32 exec_lo, exec_lo, s2
	s_delay_alu instid0(VALU_DEP_1) | instskip(SKIP_2) | instid1(VALU_DEP_2)
	v_mul_u64_e32 v[10:11], s[8:9], v[0:1]
	s_mov_b32 s2, exec_lo
	v_mov_b32_e32 v12, 0
	v_sub_nc_u64_e32 v[4:5], v[4:5], v[10:11]
                                        ; implicit-def: $vgpr10_vgpr11
	s_delay_alu instid0(VALU_DEP_1) | instskip(NEXT) | instid1(VALU_DEP_1)
	v_or_b32_e32 v13, s11, v5
	v_cmpx_ne_u64_e32 0, v[12:13]
	s_xor_b32 s3, exec_lo, s2
	s_cbranch_execz .LBB8_11
; %bb.10:
	s_ashr_i32 s8, s11, 31
	s_mov_b32 s25, 0
	s_mov_b32 s9, s8
	v_dual_mov_b32 v17, v12 :: v_dual_ashrrev_i32 v10, 31, v5
	s_add_nc_u64 s[12:13], s[10:11], s[8:9]
	v_mov_b32_e32 v19, v12
	s_xor_b64 s[12:13], s[12:13], s[8:9]
	s_delay_alu instid0(VALU_DEP_2)
	v_mov_b32_e32 v11, v10
	s_cvt_f32_u32 s2, s12
	s_cvt_f32_u32 s9, s13
	s_sub_nc_u64 s[20:21], 0, s[12:13]
	v_mov_b32_e32 v25, v12
	v_add_nc_u64_e32 v[14:15], v[4:5], v[10:11]
	s_fmamk_f32 s2, s9, 0x4f800000, s2
	v_mov_b32_e32 v13, v12
	s_delay_alu instid0(SALU_CYCLE_2) | instskip(NEXT) | instid1(VALU_DEP_2)
	v_s_rcp_f32 s2, s2
	v_xor_b32_e32 v16, v14, v10
	s_delay_alu instid0(VALU_DEP_3) | instskip(SKIP_1) | instid1(TRANS32_DEP_1)
	v_xor_b32_e32 v18, v15, v10
	v_xor_b32_e32 v10, s8, v10
	s_mul_f32 s2, s2, 0x5f7ffffc
	s_delay_alu instid0(SALU_CYCLE_3) | instskip(NEXT) | instid1(SALU_CYCLE_3)
	s_mul_f32 s9, s2, 0x2f800000
	s_trunc_f32 s9, s9
	s_delay_alu instid0(SALU_CYCLE_3) | instskip(SKIP_1) | instid1(SALU_CYCLE_2)
	s_fmamk_f32 s2, s9, 0xcf800000, s2
	s_cvt_u32_f32 s15, s9
	s_cvt_u32_f32 s14, s2
	s_delay_alu instid0(SALU_CYCLE_3) | instskip(NEXT) | instid1(SALU_CYCLE_1)
	s_mul_u64 s[22:23], s[20:21], s[14:15]
	s_mul_hi_u32 s27, s14, s23
	s_mul_i32 s26, s14, s23
	s_mul_hi_u32 s24, s14, s22
	s_mul_i32 s9, s15, s22
	s_add_nc_u64 s[26:27], s[24:25], s[26:27]
	s_mul_hi_u32 s2, s15, s22
	s_mul_hi_u32 s28, s15, s23
	s_add_co_u32 s9, s26, s9
	s_add_co_ci_u32 s24, s27, s2
	s_mul_i32 s22, s15, s23
	s_add_co_ci_u32 s23, s28, 0
	s_delay_alu instid0(SALU_CYCLE_1) | instskip(NEXT) | instid1(SALU_CYCLE_1)
	s_add_nc_u64 s[22:23], s[24:25], s[22:23]
	s_add_co_u32 s14, s14, s22
	s_cselect_b32 s2, -1, 0
	s_delay_alu instid0(SALU_CYCLE_1) | instskip(SKIP_1) | instid1(SALU_CYCLE_1)
	s_cmp_lg_u32 s2, 0
	s_add_co_ci_u32 s15, s15, s23
	s_mul_u64 s[20:21], s[20:21], s[14:15]
	s_delay_alu instid0(SALU_CYCLE_1)
	s_mul_hi_u32 s23, s14, s21
	s_mul_i32 s22, s14, s21
	s_mul_hi_u32 s24, s14, s20
	s_mul_i32 s9, s15, s20
	s_add_nc_u64 s[22:23], s[24:25], s[22:23]
	s_mul_hi_u32 s2, s15, s20
	s_mul_hi_u32 s26, s15, s21
	s_add_co_u32 s9, s22, s9
	s_add_co_ci_u32 s24, s23, s2
	s_mul_i32 s20, s15, s21
	s_add_co_ci_u32 s21, s26, 0
	s_delay_alu instid0(SALU_CYCLE_1) | instskip(NEXT) | instid1(SALU_CYCLE_1)
	s_add_nc_u64 s[20:21], s[24:25], s[20:21]
	s_add_co_u32 s2, s14, s20
	s_cselect_b32 s9, -1, 0
	v_mul_hi_u32 v24, v16, s2
	s_cmp_lg_u32 s9, 0
	s_add_co_ci_u32 s24, s15, s21
	s_mov_b64 s[14:15], 0xffffffff
	v_mul_u64_e32 v[20:21], s[24:25], v[16:17]
	s_and_b64 s[14:15], s[2:3], s[14:15]
	v_mul_u64_e32 v[22:23], s[24:25], v[18:19]
	v_mul_u64_e32 v[14:15], s[14:15], v[18:19]
	s_delay_alu instid0(VALU_DEP_3) | instskip(NEXT) | instid1(VALU_DEP_1)
	v_add_nc_u64_e32 v[20:21], v[24:25], v[20:21]
	v_add_co_u32 v7, vcc_lo, v20, v14
	s_delay_alu instid0(VALU_DEP_2) | instskip(SKIP_1) | instid1(VALU_DEP_1)
	v_add_co_ci_u32_e32 v12, vcc_lo, v21, v15, vcc_lo
	v_add_co_ci_u32_e32 v23, vcc_lo, 0, v23, vcc_lo
	v_add_nc_u64_e32 v[12:13], v[12:13], v[22:23]
	s_delay_alu instid0(VALU_DEP_1) | instskip(NEXT) | instid1(VALU_DEP_1)
	v_mul_u64_e32 v[14:15], s[12:13], v[12:13]
	v_sub_co_u32 v11, vcc_lo, v16, v14
	v_add_nc_u64_e32 v[16:17], 1, v[12:13]
	s_delay_alu instid0(VALU_DEP_3) | instskip(SKIP_1) | instid1(VALU_DEP_4)
	v_sub_nc_u32_e32 v7, v18, v15
	v_sub_co_ci_u32_e64 v18, null, v18, v15, vcc_lo
	v_sub_co_u32 v14, s2, v11, s12
	s_delay_alu instid0(VALU_DEP_3) | instskip(NEXT) | instid1(VALU_DEP_2)
	v_subrev_co_ci_u32_e64 v7, null, s13, v7, vcc_lo
	v_cmp_le_u32_e32 vcc_lo, s12, v14
	s_delay_alu instid0(VALU_DEP_2) | instskip(SKIP_1) | instid1(VALU_DEP_2)
	v_subrev_co_ci_u32_e64 v7, null, 0, v7, s2
	v_cndmask_b32_e64 v14, 0, -1, vcc_lo
	v_cmp_le_u32_e32 vcc_lo, s13, v7
	v_cndmask_b32_e64 v15, 0, -1, vcc_lo
	v_cmp_le_u32_e32 vcc_lo, s12, v11
	;; [unrolled: 2-line block ×3, first 2 shown]
	v_cndmask_b32_e64 v19, 0, -1, vcc_lo
	v_cmp_eq_u32_e32 vcc_lo, s13, v7
	v_cndmask_b32_e32 v7, v15, v14, vcc_lo
	v_cmp_eq_u32_e32 vcc_lo, s13, v18
	v_add_nc_u64_e32 v[14:15], 2, v[12:13]
	v_cndmask_b32_e32 v11, v19, v11, vcc_lo
	s_delay_alu instid0(VALU_DEP_4) | instskip(NEXT) | instid1(VALU_DEP_2)
	v_cmp_ne_u32_e32 vcc_lo, 0, v7
	v_cmp_ne_u32_e64 s2, 0, v11
	s_delay_alu instid0(VALU_DEP_4) | instskip(NEXT) | instid1(VALU_DEP_1)
	v_dual_cndmask_b32 v7, v17, v15, vcc_lo :: v_dual_cndmask_b32 v11, v16, v14, vcc_lo
	v_dual_cndmask_b32 v12, v12, v11, s2 :: v_dual_mov_b32 v11, v10
	s_delay_alu instid0(VALU_DEP_1) | instskip(NEXT) | instid1(VALU_DEP_1)
	v_dual_cndmask_b32 v7, v13, v7, s2 :: v_dual_bitop2_b32 v12, v12, v10 bitop3:0x14
	v_xor_b32_e32 v13, v7, v10
	s_delay_alu instid0(VALU_DEP_1)
	v_sub_nc_u64_e32 v[10:11], v[12:13], v[10:11]
.LBB8_11:
	s_and_not1_saveexec_b32 s2, s3
	s_cbranch_execz .LBB8_13
; %bb.12:
	v_cvt_f32_u32_e32 v7, s10
	s_sub_co_i32 s3, 0, s10
	s_delay_alu instid0(VALU_DEP_1) | instskip(SKIP_1) | instid1(TRANS32_DEP_1)
	v_rcp_iflag_f32_e32 v7, v7
	v_nop
	v_mul_f32_e32 v7, 0x4f7ffffe, v7
	s_delay_alu instid0(VALU_DEP_1) | instskip(NEXT) | instid1(VALU_DEP_1)
	v_cvt_u32_f32_e32 v7, v7
	v_mul_lo_u32 v10, s3, v7
	s_delay_alu instid0(VALU_DEP_1) | instskip(NEXT) | instid1(VALU_DEP_1)
	v_mul_hi_u32 v10, v7, v10
	v_add_nc_u32_e32 v7, v7, v10
	s_delay_alu instid0(VALU_DEP_1) | instskip(NEXT) | instid1(VALU_DEP_1)
	v_mul_hi_u32 v7, v4, v7
	v_mul_lo_u32 v10, v7, s10
	s_delay_alu instid0(VALU_DEP_1) | instskip(NEXT) | instid1(VALU_DEP_1)
	v_dual_add_nc_u32 v11, 1, v7 :: v_dual_sub_nc_u32 v10, v4, v10
	v_subrev_nc_u32_e32 v12, s10, v10
	v_cmp_le_u32_e32 vcc_lo, s10, v10
	s_delay_alu instid0(VALU_DEP_2) | instskip(NEXT) | instid1(VALU_DEP_1)
	v_dual_cndmask_b32 v10, v10, v12 :: v_dual_cndmask_b32 v7, v7, v11
	v_cmp_le_u32_e32 vcc_lo, s10, v10
	s_delay_alu instid0(VALU_DEP_2) | instskip(NEXT) | instid1(VALU_DEP_1)
	v_add_nc_u32_e32 v11, 1, v7
	v_dual_cndmask_b32 v10, v7, v11 :: v_dual_mov_b32 v11, 0
.LBB8_13:
	s_or_b32 exec_lo, exec_lo, s2
	s_load_b512 s[36:51], s[0:1], 0x40
                                        ; implicit-def: $vgpr12_vgpr13
	s_mov_b32 s2, exec_lo
	v_mov_b32_e32 v14, 0
	s_wait_kmcnt 0x0
	s_mul_u64 s[8:9], s[42:43], s[40:41]
	s_delay_alu instid0(SALU_CYCLE_1) | instskip(NEXT) | instid1(SALU_CYCLE_1)
	s_mul_u64 s[12:13], s[8:9], s[44:45]
	v_or_b32_e32 v15, s13, v3
	s_delay_alu instid0(VALU_DEP_1)
	v_cmpx_ne_u64_e32 0, v[14:15]
	s_xor_b32 s3, exec_lo, s2
	s_cbranch_execz .LBB8_15
; %bb.14:
	s_ashr_i32 s14, s13, 31
	s_mov_b32 s29, 0
	s_mov_b32 s15, s14
	v_dual_mov_b32 v7, v6 :: v_dual_mov_b32 v17, v14
	s_add_nc_u64 s[20:21], s[12:13], s[14:15]
	v_mov_b32_e32 v15, v14
	s_xor_b64 s[20:21], s[20:21], s[14:15]
	s_delay_alu instid0(VALU_DEP_2) | instskip(SKIP_4) | instid1(SALU_CYCLE_1)
	v_add_nc_u64_e32 v[12:13], v[2:3], v[6:7]
	s_cvt_f32_u32 s2, s20
	s_cvt_f32_u32 s15, s21
	s_sub_nc_u64 s[24:25], 0, s[20:21]
	v_dual_mov_b32 v19, v14 :: v_dual_mov_b32 v25, v14
	s_fmamk_f32 s2, s15, 0x4f800000, s2
	s_delay_alu instid0(VALU_DEP_2) | instskip(SKIP_3) | instid1(TRANS32_DEP_1)
	v_xor_b32_e32 v16, v12, v6
	v_xor_b32_e32 v18, v13, v6
	;; [unrolled: 1-line block ×3, first 2 shown]
	v_s_rcp_f32 s2, s2
	s_mul_f32 s2, s2, 0x5f7ffffc
	s_delay_alu instid0(SALU_CYCLE_3) | instskip(NEXT) | instid1(SALU_CYCLE_3)
	s_mul_f32 s15, s2, 0x2f800000
	s_trunc_f32 s15, s15
	s_delay_alu instid0(SALU_CYCLE_3) | instskip(SKIP_1) | instid1(SALU_CYCLE_2)
	s_fmamk_f32 s2, s15, 0xcf800000, s2
	s_cvt_u32_f32 s23, s15
	s_cvt_u32_f32 s22, s2
	s_delay_alu instid0(SALU_CYCLE_3) | instskip(NEXT) | instid1(SALU_CYCLE_1)
	s_mul_u64 s[26:27], s[24:25], s[22:23]
	s_mul_hi_u32 s31, s22, s27
	s_mul_i32 s30, s22, s27
	s_mul_hi_u32 s28, s22, s26
	s_mul_i32 s15, s23, s26
	s_add_nc_u64 s[30:31], s[28:29], s[30:31]
	s_mul_hi_u32 s2, s23, s26
	s_mul_hi_u32 s33, s23, s27
	s_add_co_u32 s15, s30, s15
	s_add_co_ci_u32 s28, s31, s2
	s_mul_i32 s26, s23, s27
	s_add_co_ci_u32 s27, s33, 0
	s_delay_alu instid0(SALU_CYCLE_1) | instskip(NEXT) | instid1(SALU_CYCLE_1)
	s_add_nc_u64 s[26:27], s[28:29], s[26:27]
	s_add_co_u32 s22, s22, s26
	s_cselect_b32 s2, -1, 0
	s_delay_alu instid0(SALU_CYCLE_1) | instskip(SKIP_1) | instid1(SALU_CYCLE_1)
	s_cmp_lg_u32 s2, 0
	s_add_co_ci_u32 s23, s23, s27
	s_mul_u64 s[24:25], s[24:25], s[22:23]
	s_delay_alu instid0(SALU_CYCLE_1)
	s_mul_hi_u32 s27, s22, s25
	s_mul_i32 s26, s22, s25
	s_mul_hi_u32 s28, s22, s24
	s_mul_i32 s15, s23, s24
	s_add_nc_u64 s[26:27], s[28:29], s[26:27]
	s_mul_hi_u32 s2, s23, s24
	s_mul_hi_u32 s30, s23, s25
	s_add_co_u32 s15, s26, s15
	s_add_co_ci_u32 s28, s27, s2
	s_mul_i32 s24, s23, s25
	s_add_co_ci_u32 s25, s30, 0
	s_delay_alu instid0(SALU_CYCLE_1) | instskip(NEXT) | instid1(SALU_CYCLE_1)
	s_add_nc_u64 s[24:25], s[28:29], s[24:25]
	s_add_co_u32 s2, s22, s24
	s_cselect_b32 s15, -1, 0
	v_nop
	v_mul_hi_u32 v24, v16, s2
	s_cmp_lg_u32 s15, 0
	s_add_co_ci_u32 s28, s23, s25
	s_mov_b64 s[22:23], 0xffffffff
	v_mul_u64_e32 v[20:21], s[28:29], v[16:17]
	s_and_b64 s[22:23], s[2:3], s[22:23]
	v_mul_u64_e32 v[22:23], s[28:29], v[18:19]
	v_mul_u64_e32 v[12:13], s[22:23], v[18:19]
	s_delay_alu instid0(VALU_DEP_3) | instskip(NEXT) | instid1(VALU_DEP_1)
	v_add_nc_u64_e32 v[20:21], v[24:25], v[20:21]
	v_add_co_u32 v7, vcc_lo, v20, v12
	s_delay_alu instid0(VALU_DEP_2) | instskip(SKIP_1) | instid1(VALU_DEP_1)
	v_add_co_ci_u32_e32 v14, vcc_lo, v21, v13, vcc_lo
	v_add_co_ci_u32_e32 v23, vcc_lo, 0, v23, vcc_lo
	v_add_nc_u64_e32 v[12:13], v[14:15], v[22:23]
	s_delay_alu instid0(VALU_DEP_1) | instskip(NEXT) | instid1(VALU_DEP_1)
	v_mul_u64_e32 v[14:15], s[20:21], v[12:13]
	v_sub_nc_u32_e32 v7, v18, v15
	s_delay_alu instid0(VALU_DEP_2) | instskip(NEXT) | instid1(VALU_DEP_1)
	v_sub_co_u32 v14, vcc_lo, v16, v14
	v_sub_co_ci_u32_e64 v18, null, v18, v15, vcc_lo
	s_delay_alu instid0(VALU_DEP_3) | instskip(NEXT) | instid1(VALU_DEP_3)
	v_subrev_co_ci_u32_e64 v7, null, s21, v7, vcc_lo
	v_sub_co_u32 v16, s2, v14, s20
	s_delay_alu instid0(VALU_DEP_1) | instskip(NEXT) | instid1(VALU_DEP_2)
	v_subrev_co_ci_u32_e64 v7, null, 0, v7, s2
	v_cmp_le_u32_e32 vcc_lo, s20, v16
	v_cndmask_b32_e64 v15, 0, -1, vcc_lo
	s_delay_alu instid0(VALU_DEP_3)
	v_cmp_le_u32_e32 vcc_lo, s21, v7
	v_cndmask_b32_e64 v16, 0, -1, vcc_lo
	v_cmp_le_u32_e32 vcc_lo, s20, v14
	v_cndmask_b32_e64 v19, 0, -1, vcc_lo
	;; [unrolled: 2-line block ×3, first 2 shown]
	v_cmp_eq_u32_e32 vcc_lo, s21, v7
	v_cndmask_b32_e32 v7, v16, v15, vcc_lo
	v_cmp_eq_u32_e32 vcc_lo, s21, v18
	v_add_nc_u64_e32 v[14:15], 2, v[12:13]
	v_add_nc_u64_e32 v[16:17], 1, v[12:13]
	v_cndmask_b32_e32 v18, v20, v19, vcc_lo
	v_cmp_ne_u32_e32 vcc_lo, 0, v7
	s_delay_alu instid0(VALU_DEP_2) | instskip(NEXT) | instid1(VALU_DEP_4)
	v_cmp_ne_u32_e64 s2, 0, v18
	v_dual_cndmask_b32 v14, v16, v14 :: v_dual_cndmask_b32 v7, v17, v15
	s_delay_alu instid0(VALU_DEP_1) | instskip(NEXT) | instid1(VALU_DEP_1)
	v_dual_cndmask_b32 v12, v12, v14, s2 :: v_dual_cndmask_b32 v13, v13, v7, s2
	v_dual_mov_b32 v7, v6 :: v_dual_bitop2_b32 v12, v12, v6 bitop3:0x14
	s_delay_alu instid0(VALU_DEP_2) | instskip(NEXT) | instid1(VALU_DEP_1)
	v_xor_b32_e32 v13, v13, v6
	v_sub_nc_u64_e32 v[12:13], v[12:13], v[6:7]
.LBB8_15:
	s_and_not1_saveexec_b32 s2, s3
	s_cbranch_execz .LBB8_17
; %bb.16:
	v_cvt_f32_u32_e32 v6, s12
	s_sub_co_i32 s3, 0, s12
	s_delay_alu instid0(VALU_DEP_1) | instskip(SKIP_1) | instid1(TRANS32_DEP_1)
	v_rcp_iflag_f32_e32 v6, v6
	v_nop
	v_mul_f32_e32 v6, 0x4f7ffffe, v6
	s_delay_alu instid0(VALU_DEP_1) | instskip(NEXT) | instid1(VALU_DEP_1)
	v_cvt_u32_f32_e32 v6, v6
	v_mul_lo_u32 v7, s3, v6
	s_delay_alu instid0(VALU_DEP_1) | instskip(NEXT) | instid1(VALU_DEP_1)
	v_mul_hi_u32 v7, v6, v7
	v_add_nc_u32_e32 v6, v6, v7
	s_delay_alu instid0(VALU_DEP_1) | instskip(NEXT) | instid1(VALU_DEP_1)
	v_mul_hi_u32 v6, v2, v6
	v_mul_lo_u32 v7, v6, s12
	s_delay_alu instid0(VALU_DEP_1) | instskip(NEXT) | instid1(VALU_DEP_1)
	v_dual_add_nc_u32 v12, 1, v6 :: v_dual_sub_nc_u32 v7, v2, v7
	v_subrev_nc_u32_e32 v13, s12, v7
	v_cmp_le_u32_e32 vcc_lo, s12, v7
	s_delay_alu instid0(VALU_DEP_2) | instskip(NEXT) | instid1(VALU_DEP_4)
	v_dual_cndmask_b32 v7, v7, v13, vcc_lo :: v_dual_mov_b32 v13, 0
	v_cndmask_b32_e32 v6, v6, v12, vcc_lo
	s_delay_alu instid0(VALU_DEP_2) | instskip(NEXT) | instid1(VALU_DEP_2)
	v_cmp_le_u32_e32 vcc_lo, s12, v7
	v_add_nc_u32_e32 v12, 1, v6
	s_delay_alu instid0(VALU_DEP_1)
	v_cndmask_b32_e32 v12, v6, v12, vcc_lo
.LBB8_17:
	s_or_b32 exec_lo, exec_lo, s2
	s_delay_alu instid0(VALU_DEP_1) | instskip(SKIP_1) | instid1(VALU_DEP_1)
	v_mul_u64_e32 v[6:7], s[12:13], v[12:13]
                                        ; implicit-def: $vgpr14_vgpr15
	s_mov_b32 s2, exec_lo
	v_sub_nc_u64_e32 v[2:3], v[2:3], v[6:7]
	s_delay_alu instid0(VALU_DEP_1) | instskip(NEXT) | instid1(VALU_DEP_1)
	v_dual_mov_b32 v6, 0 :: v_dual_bitop2_b32 v7, s9, v3 bitop3:0x54
	v_cmpx_ne_u64_e32 0, v[6:7]
	s_xor_b32 s3, exec_lo, s2
	s_cbranch_execz .LBB8_19
; %bb.18:
	s_ashr_i32 s12, s9, 31
	s_mov_b32 s27, 0
	s_mov_b32 s13, s12
	v_dual_mov_b32 v19, v6 :: v_dual_ashrrev_i32 v14, 31, v3
	s_add_nc_u64 s[14:15], s[8:9], s[12:13]
	v_dual_mov_b32 v27, v6 :: v_dual_mov_b32 v7, v6
	s_xor_b64 s[14:15], s[14:15], s[12:13]
	s_delay_alu instid0(VALU_DEP_2) | instskip(SKIP_3) | instid1(VALU_DEP_1)
	v_mov_b32_e32 v15, v14
	s_cvt_f32_u32 s2, s14
	s_cvt_f32_u32 s13, s15
	s_sub_nc_u64 s[22:23], 0, s[14:15]
	v_add_nc_u64_e32 v[16:17], v[2:3], v[14:15]
	s_delay_alu instid0(SALU_CYCLE_1) | instskip(SKIP_1) | instid1(SALU_CYCLE_2)
	s_fmamk_f32 s2, s13, 0x4f800000, s2
	v_mov_b32_e32 v21, v6
	v_s_rcp_f32 s2, s2
	s_delay_alu instid0(VALU_DEP_2) | instskip(NEXT) | instid1(VALU_DEP_3)
	v_xor_b32_e32 v18, v16, v14
	v_xor_b32_e32 v20, v17, v14
	;; [unrolled: 1-line block ×3, first 2 shown]
	s_delay_alu instid0(TRANS32_DEP_1) | instskip(NEXT) | instid1(SALU_CYCLE_3)
	s_mul_f32 s2, s2, 0x5f7ffffc
	s_mul_f32 s13, s2, 0x2f800000
	s_delay_alu instid0(SALU_CYCLE_3) | instskip(NEXT) | instid1(SALU_CYCLE_3)
	s_trunc_f32 s13, s13
	s_fmamk_f32 s2, s13, 0xcf800000, s2
	s_cvt_u32_f32 s21, s13
	s_delay_alu instid0(SALU_CYCLE_2) | instskip(NEXT) | instid1(SALU_CYCLE_3)
	s_cvt_u32_f32 s20, s2
	s_mul_u64 s[24:25], s[22:23], s[20:21]
	s_delay_alu instid0(SALU_CYCLE_1)
	s_mul_hi_u32 s29, s20, s25
	s_mul_i32 s28, s20, s25
	s_mul_hi_u32 s26, s20, s24
	s_mul_i32 s13, s21, s24
	s_add_nc_u64 s[28:29], s[26:27], s[28:29]
	s_mul_hi_u32 s2, s21, s24
	s_mul_hi_u32 s30, s21, s25
	s_add_co_u32 s13, s28, s13
	s_add_co_ci_u32 s26, s29, s2
	s_mul_i32 s24, s21, s25
	s_add_co_ci_u32 s25, s30, 0
	s_delay_alu instid0(SALU_CYCLE_1) | instskip(NEXT) | instid1(SALU_CYCLE_1)
	s_add_nc_u64 s[24:25], s[26:27], s[24:25]
	s_add_co_u32 s20, s20, s24
	s_cselect_b32 s2, -1, 0
	s_delay_alu instid0(SALU_CYCLE_1) | instskip(SKIP_1) | instid1(SALU_CYCLE_1)
	s_cmp_lg_u32 s2, 0
	s_add_co_ci_u32 s21, s21, s25
	s_mul_u64 s[22:23], s[22:23], s[20:21]
	s_delay_alu instid0(SALU_CYCLE_1)
	s_mul_hi_u32 s25, s20, s23
	s_mul_i32 s24, s20, s23
	s_mul_hi_u32 s26, s20, s22
	s_mul_i32 s13, s21, s22
	s_add_nc_u64 s[24:25], s[26:27], s[24:25]
	s_mul_hi_u32 s2, s21, s22
	s_mul_hi_u32 s28, s21, s23
	s_add_co_u32 s13, s24, s13
	s_add_co_ci_u32 s26, s25, s2
	s_mul_i32 s22, s21, s23
	s_add_co_ci_u32 s23, s28, 0
	s_delay_alu instid0(SALU_CYCLE_1) | instskip(NEXT) | instid1(SALU_CYCLE_1)
	s_add_nc_u64 s[22:23], s[26:27], s[22:23]
	s_add_co_u32 s2, s20, s22
	s_cselect_b32 s13, -1, 0
	v_mul_hi_u32 v26, v18, s2
	s_cmp_lg_u32 s13, 0
	s_add_co_ci_u32 s26, s21, s23
	s_mov_b64 s[20:21], 0xffffffff
	v_mul_u64_e32 v[22:23], s[26:27], v[18:19]
	s_and_b64 s[20:21], s[2:3], s[20:21]
	v_mul_u64_e32 v[24:25], s[26:27], v[20:21]
	v_mul_u64_e32 v[16:17], s[20:21], v[20:21]
	s_delay_alu instid0(VALU_DEP_3) | instskip(NEXT) | instid1(VALU_DEP_1)
	v_add_nc_u64_e32 v[22:23], v[26:27], v[22:23]
	v_add_co_u32 v6, vcc_lo, v22, v16
	s_delay_alu instid0(VALU_DEP_2) | instskip(SKIP_1) | instid1(VALU_DEP_1)
	v_add_co_ci_u32_e32 v6, vcc_lo, v23, v17, vcc_lo
	v_add_co_ci_u32_e32 v25, vcc_lo, 0, v25, vcc_lo
	v_add_nc_u64_e32 v[6:7], v[6:7], v[24:25]
	s_delay_alu instid0(VALU_DEP_1) | instskip(NEXT) | instid1(VALU_DEP_1)
	v_mul_u64_e32 v[16:17], s[14:15], v[6:7]
	v_sub_nc_u32_e32 v15, v20, v17
	s_delay_alu instid0(VALU_DEP_2) | instskip(NEXT) | instid1(VALU_DEP_1)
	v_sub_co_u32 v16, vcc_lo, v18, v16
	v_sub_co_ci_u32_e64 v20, null, v20, v17, vcc_lo
	s_delay_alu instid0(VALU_DEP_3) | instskip(NEXT) | instid1(VALU_DEP_3)
	v_subrev_co_ci_u32_e64 v15, null, s15, v15, vcc_lo
	v_sub_co_u32 v18, s2, v16, s14
	s_delay_alu instid0(VALU_DEP_1) | instskip(NEXT) | instid1(VALU_DEP_2)
	v_subrev_co_ci_u32_e64 v15, null, 0, v15, s2
	v_cmp_le_u32_e32 vcc_lo, s14, v18
	v_cndmask_b32_e64 v17, 0, -1, vcc_lo
	s_delay_alu instid0(VALU_DEP_3)
	v_cmp_le_u32_e32 vcc_lo, s15, v15
	v_cndmask_b32_e64 v18, 0, -1, vcc_lo
	v_cmp_le_u32_e32 vcc_lo, s14, v16
	v_cndmask_b32_e64 v21, 0, -1, vcc_lo
	;; [unrolled: 2-line block ×3, first 2 shown]
	v_cmp_eq_u32_e32 vcc_lo, s15, v15
	v_cndmask_b32_e32 v15, v18, v17, vcc_lo
	v_cmp_eq_u32_e32 vcc_lo, s15, v20
	v_add_nc_u64_e32 v[16:17], 2, v[6:7]
	v_add_nc_u64_e32 v[18:19], 1, v[6:7]
	v_cndmask_b32_e32 v20, v22, v21, vcc_lo
	v_cmp_ne_u32_e32 vcc_lo, 0, v15
	s_delay_alu instid0(VALU_DEP_2) | instskip(NEXT) | instid1(VALU_DEP_4)
	v_cmp_ne_u32_e64 s2, 0, v20
	v_dual_cndmask_b32 v16, v18, v16 :: v_dual_cndmask_b32 v15, v19, v17
	s_delay_alu instid0(VALU_DEP_1) | instskip(SKIP_1) | instid1(VALU_DEP_2)
	v_dual_cndmask_b32 v6, v6, v16, s2 :: v_dual_cndmask_b32 v7, v7, v15, s2
	v_mov_b32_e32 v15, v14
	v_xor_b32_e32 v6, v6, v14
	s_delay_alu instid0(VALU_DEP_3) | instskip(NEXT) | instid1(VALU_DEP_1)
	v_xor_b32_e32 v7, v7, v14
	v_sub_nc_u64_e32 v[14:15], v[6:7], v[14:15]
.LBB8_19:
	s_and_not1_saveexec_b32 s2, s3
	s_cbranch_execz .LBB8_21
; %bb.20:
	v_cvt_f32_u32_e32 v6, s8
	s_sub_co_i32 s3, 0, s8
	s_delay_alu instid0(VALU_DEP_1) | instskip(SKIP_1) | instid1(TRANS32_DEP_1)
	v_rcp_iflag_f32_e32 v6, v6
	v_nop
	v_mul_f32_e32 v6, 0x4f7ffffe, v6
	s_delay_alu instid0(VALU_DEP_1) | instskip(NEXT) | instid1(VALU_DEP_1)
	v_cvt_u32_f32_e32 v6, v6
	v_mul_lo_u32 v7, s3, v6
	s_delay_alu instid0(VALU_DEP_1) | instskip(NEXT) | instid1(VALU_DEP_1)
	v_mul_hi_u32 v7, v6, v7
	v_add_nc_u32_e32 v6, v6, v7
	s_delay_alu instid0(VALU_DEP_1) | instskip(NEXT) | instid1(VALU_DEP_1)
	v_mul_hi_u32 v6, v2, v6
	v_mul_lo_u32 v7, v6, s8
	s_delay_alu instid0(VALU_DEP_1) | instskip(NEXT) | instid1(VALU_DEP_1)
	v_sub_nc_u32_e32 v7, v2, v7
	v_subrev_nc_u32_e32 v15, s8, v7
	v_cmp_le_u32_e32 vcc_lo, s8, v7
	s_delay_alu instid0(VALU_DEP_2) | instskip(NEXT) | instid1(VALU_DEP_1)
	v_dual_cndmask_b32 v7, v7, v15 :: v_dual_add_nc_u32 v14, 1, v6
	v_dual_cndmask_b32 v6, v6, v14 :: v_dual_mov_b32 v15, 0
	s_delay_alu instid0(VALU_DEP_2) | instskip(NEXT) | instid1(VALU_DEP_2)
	v_cmp_le_u32_e32 vcc_lo, s8, v7
	v_add_nc_u32_e32 v14, 1, v6
	s_delay_alu instid0(VALU_DEP_1)
	v_cndmask_b32_e32 v14, v6, v14, vcc_lo
.LBB8_21:
	s_or_b32 exec_lo, exec_lo, s2
	s_delay_alu instid0(VALU_DEP_1) | instskip(SKIP_1) | instid1(VALU_DEP_1)
	v_mul_u64_e32 v[6:7], s[8:9], v[14:15]
                                        ; implicit-def: $vgpr20_vgpr21
	s_mov_b32 s2, exec_lo
	v_sub_nc_u64_e32 v[18:19], v[2:3], v[6:7]
	s_delay_alu instid0(VALU_DEP_1) | instskip(NEXT) | instid1(VALU_DEP_1)
	v_dual_mov_b32 v2, 0 :: v_dual_bitop2_b32 v3, s41, v19 bitop3:0x54
	v_cmpx_ne_u64_e32 0, v[2:3]
	s_xor_b32 s3, exec_lo, s2
	s_cbranch_execz .LBB8_23
; %bb.22:
	s_ashr_i32 s8, s41, 31
	s_mov_b32 s25, 0
	s_mov_b32 s9, s8
	v_dual_mov_b32 v21, v2 :: v_dual_ashrrev_i32 v6, 31, v19
	s_add_nc_u64 s[12:13], s[40:41], s[8:9]
	v_dual_mov_b32 v29, v2 :: v_dual_mov_b32 v3, v2
	s_xor_b64 s[12:13], s[12:13], s[8:9]
	s_delay_alu instid0(VALU_DEP_2) | instskip(SKIP_3) | instid1(VALU_DEP_1)
	v_mov_b32_e32 v7, v6
	s_cvt_f32_u32 s2, s12
	s_cvt_f32_u32 s9, s13
	s_sub_nc_u64 s[20:21], 0, s[12:13]
	v_add_nc_u64_e32 v[16:17], v[18:19], v[6:7]
	s_delay_alu instid0(SALU_CYCLE_1) | instskip(SKIP_1) | instid1(SALU_CYCLE_2)
	s_fmamk_f32 s2, s9, 0x4f800000, s2
	v_mov_b32_e32 v23, v2
	v_s_rcp_f32 s2, s2
	s_delay_alu instid0(VALU_DEP_2) | instskip(NEXT) | instid1(VALU_DEP_3)
	v_xor_b32_e32 v20, v16, v6
	v_xor_b32_e32 v22, v17, v6
	;; [unrolled: 1-line block ×3, first 2 shown]
	s_delay_alu instid0(TRANS32_DEP_1) | instskip(NEXT) | instid1(SALU_CYCLE_3)
	s_mul_f32 s2, s2, 0x5f7ffffc
	s_mul_f32 s9, s2, 0x2f800000
	s_delay_alu instid0(SALU_CYCLE_3) | instskip(NEXT) | instid1(SALU_CYCLE_3)
	s_trunc_f32 s9, s9
	s_fmamk_f32 s2, s9, 0xcf800000, s2
	s_cvt_u32_f32 s15, s9
	s_delay_alu instid0(SALU_CYCLE_2) | instskip(NEXT) | instid1(SALU_CYCLE_3)
	s_cvt_u32_f32 s14, s2
	s_mul_u64 s[22:23], s[20:21], s[14:15]
	s_delay_alu instid0(SALU_CYCLE_1)
	s_mul_hi_u32 s27, s14, s23
	s_mul_i32 s26, s14, s23
	s_mul_hi_u32 s24, s14, s22
	s_mul_i32 s9, s15, s22
	s_add_nc_u64 s[26:27], s[24:25], s[26:27]
	s_mul_hi_u32 s2, s15, s22
	s_mul_hi_u32 s28, s15, s23
	s_add_co_u32 s9, s26, s9
	s_add_co_ci_u32 s24, s27, s2
	s_mul_i32 s22, s15, s23
	s_add_co_ci_u32 s23, s28, 0
	s_delay_alu instid0(SALU_CYCLE_1) | instskip(NEXT) | instid1(SALU_CYCLE_1)
	s_add_nc_u64 s[22:23], s[24:25], s[22:23]
	s_add_co_u32 s14, s14, s22
	s_cselect_b32 s2, -1, 0
	s_delay_alu instid0(SALU_CYCLE_1) | instskip(SKIP_1) | instid1(SALU_CYCLE_1)
	s_cmp_lg_u32 s2, 0
	s_add_co_ci_u32 s15, s15, s23
	s_mul_u64 s[20:21], s[20:21], s[14:15]
	s_delay_alu instid0(SALU_CYCLE_1)
	s_mul_hi_u32 s23, s14, s21
	s_mul_i32 s22, s14, s21
	s_mul_hi_u32 s24, s14, s20
	s_mul_i32 s9, s15, s20
	s_add_nc_u64 s[22:23], s[24:25], s[22:23]
	s_mul_hi_u32 s2, s15, s20
	s_mul_hi_u32 s26, s15, s21
	s_add_co_u32 s9, s22, s9
	s_add_co_ci_u32 s24, s23, s2
	s_mul_i32 s20, s15, s21
	s_add_co_ci_u32 s21, s26, 0
	s_delay_alu instid0(SALU_CYCLE_1) | instskip(NEXT) | instid1(SALU_CYCLE_1)
	s_add_nc_u64 s[20:21], s[24:25], s[20:21]
	s_add_co_u32 s2, s14, s20
	s_cselect_b32 s9, -1, 0
	v_mul_hi_u32 v28, v20, s2
	s_cmp_lg_u32 s9, 0
	s_add_co_ci_u32 s24, s15, s21
	s_mov_b64 s[14:15], 0xffffffff
	v_mul_u64_e32 v[24:25], s[24:25], v[20:21]
	s_and_b64 s[14:15], s[2:3], s[14:15]
	v_mul_u64_e32 v[26:27], s[24:25], v[22:23]
	v_mul_u64_e32 v[16:17], s[14:15], v[22:23]
	s_delay_alu instid0(VALU_DEP_3) | instskip(NEXT) | instid1(VALU_DEP_1)
	v_add_nc_u64_e32 v[24:25], v[28:29], v[24:25]
	v_add_co_u32 v2, vcc_lo, v24, v16
	s_delay_alu instid0(VALU_DEP_2) | instskip(SKIP_1) | instid1(VALU_DEP_1)
	v_add_co_ci_u32_e32 v2, vcc_lo, v25, v17, vcc_lo
	v_add_co_ci_u32_e32 v27, vcc_lo, 0, v27, vcc_lo
	v_add_nc_u64_e32 v[2:3], v[2:3], v[26:27]
	s_delay_alu instid0(VALU_DEP_1) | instskip(NEXT) | instid1(VALU_DEP_1)
	v_mul_u64_e32 v[16:17], s[12:13], v[2:3]
	v_sub_nc_u32_e32 v7, v22, v17
	s_delay_alu instid0(VALU_DEP_2) | instskip(NEXT) | instid1(VALU_DEP_1)
	v_sub_co_u32 v16, vcc_lo, v20, v16
	v_sub_co_ci_u32_e64 v22, null, v22, v17, vcc_lo
	s_delay_alu instid0(VALU_DEP_3) | instskip(NEXT) | instid1(VALU_DEP_3)
	v_subrev_co_ci_u32_e64 v7, null, s13, v7, vcc_lo
	v_sub_co_u32 v20, s2, v16, s12
	s_delay_alu instid0(VALU_DEP_1) | instskip(NEXT) | instid1(VALU_DEP_2)
	v_subrev_co_ci_u32_e64 v7, null, 0, v7, s2
	v_cmp_le_u32_e32 vcc_lo, s12, v20
	v_cndmask_b32_e64 v17, 0, -1, vcc_lo
	s_delay_alu instid0(VALU_DEP_3)
	v_cmp_le_u32_e32 vcc_lo, s13, v7
	v_cndmask_b32_e64 v20, 0, -1, vcc_lo
	v_cmp_le_u32_e32 vcc_lo, s12, v16
	v_cndmask_b32_e64 v23, 0, -1, vcc_lo
	;; [unrolled: 2-line block ×3, first 2 shown]
	v_cmp_eq_u32_e32 vcc_lo, s13, v7
	v_cndmask_b32_e32 v7, v20, v17, vcc_lo
	v_cmp_eq_u32_e32 vcc_lo, s13, v22
	v_add_nc_u64_e32 v[16:17], 2, v[2:3]
	v_add_nc_u64_e32 v[20:21], 1, v[2:3]
	v_cndmask_b32_e32 v22, v24, v23, vcc_lo
	v_cmp_ne_u32_e32 vcc_lo, 0, v7
	s_delay_alu instid0(VALU_DEP_2) | instskip(NEXT) | instid1(VALU_DEP_4)
	v_cmp_ne_u32_e64 s2, 0, v22
	v_dual_cndmask_b32 v7, v21, v17 :: v_dual_cndmask_b32 v16, v20, v16
	s_delay_alu instid0(VALU_DEP_1) | instskip(NEXT) | instid1(VALU_DEP_1)
	v_dual_cndmask_b32 v3, v3, v7, s2 :: v_dual_cndmask_b32 v2, v2, v16, s2
	v_dual_mov_b32 v7, v6 :: v_dual_bitop2_b32 v3, v3, v6 bitop3:0x14
	s_delay_alu instid0(VALU_DEP_2) | instskip(NEXT) | instid1(VALU_DEP_1)
	v_xor_b32_e32 v2, v2, v6
	v_sub_nc_u64_e32 v[20:21], v[2:3], v[6:7]
.LBB8_23:
	s_and_not1_saveexec_b32 s2, s3
	s_cbranch_execz .LBB8_25
; %bb.24:
	v_cvt_f32_u32_e32 v2, s40
	s_sub_co_i32 s3, 0, s40
	v_mov_b32_e32 v21, 0
	s_delay_alu instid0(VALU_DEP_2) | instskip(SKIP_1) | instid1(TRANS32_DEP_1)
	v_rcp_iflag_f32_e32 v2, v2
	v_nop
	v_mul_f32_e32 v2, 0x4f7ffffe, v2
	s_delay_alu instid0(VALU_DEP_1) | instskip(NEXT) | instid1(VALU_DEP_1)
	v_cvt_u32_f32_e32 v2, v2
	v_mul_lo_u32 v3, s3, v2
	s_delay_alu instid0(VALU_DEP_1) | instskip(NEXT) | instid1(VALU_DEP_1)
	v_mul_hi_u32 v3, v2, v3
	v_add_nc_u32_e32 v2, v2, v3
	s_delay_alu instid0(VALU_DEP_1) | instskip(NEXT) | instid1(VALU_DEP_1)
	v_mul_hi_u32 v2, v18, v2
	v_mul_lo_u32 v3, v2, s40
	s_delay_alu instid0(VALU_DEP_1) | instskip(NEXT) | instid1(VALU_DEP_1)
	v_sub_nc_u32_e32 v3, v18, v3
	v_subrev_nc_u32_e32 v7, s40, v3
	v_cmp_le_u32_e32 vcc_lo, s40, v3
	s_delay_alu instid0(VALU_DEP_2) | instskip(NEXT) | instid1(VALU_DEP_1)
	v_dual_cndmask_b32 v3, v3, v7 :: v_dual_add_nc_u32 v6, 1, v2
	v_cndmask_b32_e32 v2, v2, v6, vcc_lo
	s_delay_alu instid0(VALU_DEP_2) | instskip(NEXT) | instid1(VALU_DEP_2)
	v_cmp_le_u32_e32 vcc_lo, s40, v3
	v_add_nc_u32_e32 v6, 1, v2
	s_delay_alu instid0(VALU_DEP_1)
	v_cndmask_b32_e32 v20, v2, v6, vcc_lo
.LBB8_25:
	s_or_b32 exec_lo, exec_lo, s2
	v_mul_u64_e32 v[2:3], s[10:11], v[10:11]
	v_mul_u64_e32 v[24:25], s[36:37], v[0:1]
	v_mul_lo_u32 v27, v10, s19
	v_mul_lo_u32 v11, v11, s18
	;; [unrolled: 1-line block ×4, first 2 shown]
	s_load_b64 s[0:1], s[0:1], 0x80
	s_mov_b64 s[2:3], 0
	s_wait_kmcnt 0x0
	v_mul_lo_u32 v13, v13, s0
	v_sub_nc_u64_e32 v[22:23], v[4:5], v[2:3]
	s_delay_alu instid0(VALU_DEP_1) | instskip(SKIP_1) | instid1(VALU_DEP_3)
	v_mad_nc_u64_u32 v[0:1], v22, s16, s[4:5]
	v_mul_lo_u32 v26, v22, s17
	v_mul_lo_u32 v23, v23, s16
	s_delay_alu instid0(VALU_DEP_1) | instskip(NEXT) | instid1(VALU_DEP_1)
	v_add3_u32 v1, v23, v1, v26
	v_mad_nc_u64_u32 v[0:1], v10, s18, v[0:1]
	s_delay_alu instid0(VALU_DEP_1) | instskip(NEXT) | instid1(VALU_DEP_1)
	v_add3_u32 v1, v11, v1, v27
	v_add_nc_u64_e32 v[0:1], v[0:1], v[24:25]
	s_delay_alu instid0(VALU_DEP_1) | instskip(NEXT) | instid1(VALU_DEP_1)
	v_mad_nc_u64_u32 v[16:17], v8, s38, v[0:1]
	v_add3_u32 v17, v29, v17, v28
	s_clause 0x7
	global_load_b128 v[30:33], v[16:17], off
	global_load_b128 v[34:37], v[16:17], off offset:16
	global_load_b128 v[38:41], v[16:17], off offset:32
	;; [unrolled: 1-line block ×7, first 2 shown]
	s_wait_loadcnt 0x7
	v_cmp_gt_f32_e32 vcc_lo, v30, v31
	v_cndmask_b32_e32 v9, v30, v31, vcc_lo
	v_cmp_gt_f32_e32 vcc_lo, v31, v30
	v_cndmask_b32_e32 v30, v30, v31, vcc_lo
	s_delay_alu instid0(VALU_DEP_3) | instskip(SKIP_1) | instid1(VALU_DEP_3)
	v_cmp_gt_f32_e32 vcc_lo, v9, v32
	v_cndmask_b32_e32 v9, v9, v32, vcc_lo
	v_cmp_gt_f32_e32 vcc_lo, v32, v30
	v_cndmask_b32_e32 v30, v30, v32, vcc_lo
	s_delay_alu instid0(VALU_DEP_3) | instskip(SKIP_1) | instid1(VALU_DEP_3)
	v_cmp_gt_f32_e32 vcc_lo, v9, v33
	v_cndmask_b32_e32 v9, v9, v33, vcc_lo
	v_cmp_gt_f32_e32 vcc_lo, v33, v30
	v_cndmask_b32_e32 v30, v30, v33, vcc_lo
	s_wait_loadcnt 0x6
	s_delay_alu instid0(VALU_DEP_3) | instskip(SKIP_1) | instid1(VALU_DEP_3)
	v_cmp_gt_f32_e32 vcc_lo, v9, v34
	v_cndmask_b32_e32 v9, v9, v34, vcc_lo
	v_cmp_gt_f32_e32 vcc_lo, v34, v30
	v_cndmask_b32_e32 v30, v30, v34, vcc_lo
	s_delay_alu instid0(VALU_DEP_3) | instskip(SKIP_1) | instid1(VALU_DEP_3)
	v_cmp_gt_f32_e32 vcc_lo, v9, v35
	v_cndmask_b32_e32 v9, v9, v35, vcc_lo
	v_cmp_gt_f32_e32 vcc_lo, v35, v30
	v_cndmask_b32_e32 v30, v30, v35, vcc_lo
	;; [unrolled: 5-line block ×4, first 2 shown]
	s_wait_loadcnt 0x5
	s_delay_alu instid0(VALU_DEP_3) | instskip(SKIP_1) | instid1(VALU_DEP_3)
	v_cmp_gt_f32_e32 vcc_lo, v9, v38
	v_cndmask_b32_e32 v9, v9, v38, vcc_lo
	v_cmp_gt_f32_e32 vcc_lo, v38, v30
	v_cndmask_b32_e32 v30, v30, v38, vcc_lo
	s_delay_alu instid0(VALU_DEP_3) | instskip(SKIP_1) | instid1(VALU_DEP_3)
	v_cmp_lt_f32_e32 vcc_lo, v39, v9
	v_cndmask_b32_e32 v9, v9, v39, vcc_lo
	v_cmp_gt_f32_e32 vcc_lo, v39, v30
	v_cndmask_b32_e32 v30, v30, v39, vcc_lo
	s_delay_alu instid0(VALU_DEP_3) | instskip(SKIP_1) | instid1(VALU_DEP_3)
	v_cmp_gt_f32_e32 vcc_lo, v9, v40
	v_cndmask_b32_e32 v9, v9, v40, vcc_lo
	v_cmp_gt_f32_e32 vcc_lo, v40, v30
	v_cndmask_b32_e32 v30, v30, v40, vcc_lo
	s_delay_alu instid0(VALU_DEP_3) | instskip(SKIP_1) | instid1(VALU_DEP_3)
	v_cmp_gt_f32_e32 vcc_lo, v9, v41
	v_cndmask_b32_e32 v9, v9, v41, vcc_lo
	v_cmp_gt_f32_e32 vcc_lo, v41, v30
	v_cndmask_b32_e32 v30, v30, v41, vcc_lo
	s_wait_loadcnt 0x4
	s_delay_alu instid0(VALU_DEP_3) | instskip(SKIP_1) | instid1(VALU_DEP_3)
	v_cmp_gt_f32_e32 vcc_lo, v9, v4
	v_cndmask_b32_e32 v9, v9, v4, vcc_lo
	v_cmp_gt_f32_e32 vcc_lo, v4, v30
	v_cndmask_b32_e32 v4, v30, v4, vcc_lo
	s_delay_alu instid0(VALU_DEP_3) | instskip(SKIP_1) | instid1(VALU_DEP_3)
	v_cmp_gt_f32_e32 vcc_lo, v9, v5
	v_cndmask_b32_e32 v9, v9, v5, vcc_lo
	v_cmp_gt_f32_e32 vcc_lo, v5, v4
	v_cndmask_b32_e32 v4, v4, v5, vcc_lo
	;; [unrolled: 5-line block ×4, first 2 shown]
	s_wait_loadcnt 0x3
	s_delay_alu instid0(VALU_DEP_3) | instskip(SKIP_1) | instid1(VALU_DEP_3)
	v_cmp_gt_f32_e32 vcc_lo, v5, v42
	v_cndmask_b32_e32 v5, v5, v42, vcc_lo
	v_cmp_gt_f32_e32 vcc_lo, v42, v4
	v_cndmask_b32_e32 v4, v4, v42, vcc_lo
	s_delay_alu instid0(VALU_DEP_3) | instskip(SKIP_1) | instid1(VALU_DEP_3)
	v_cmp_gt_f32_e32 vcc_lo, v5, v43
	v_cndmask_b32_e32 v5, v5, v43, vcc_lo
	v_cmp_gt_f32_e32 vcc_lo, v43, v4
	v_cndmask_b32_e32 v4, v4, v43, vcc_lo
	;; [unrolled: 5-line block ×4, first 2 shown]
	s_wait_loadcnt 0x2
	s_delay_alu instid0(VALU_DEP_3) | instskip(SKIP_1) | instid1(VALU_DEP_3)
	v_cmp_lt_f32_e32 vcc_lo, v46, v5
	v_cndmask_b32_e32 v5, v5, v46, vcc_lo
	v_cmp_gt_f32_e32 vcc_lo, v46, v4
	v_cndmask_b32_e32 v4, v4, v46, vcc_lo
	s_delay_alu instid0(VALU_DEP_3) | instskip(SKIP_1) | instid1(VALU_DEP_3)
	v_cmp_gt_f32_e32 vcc_lo, v5, v47
	v_cndmask_b32_e32 v5, v5, v47, vcc_lo
	v_cmp_gt_f32_e32 vcc_lo, v47, v4
	v_cndmask_b32_e32 v4, v4, v47, vcc_lo
	s_delay_alu instid0(VALU_DEP_3) | instskip(SKIP_1) | instid1(VALU_DEP_3)
	v_cmp_gt_f32_e32 vcc_lo, v5, v48
	;; [unrolled: 5-line block ×3, first 2 shown]
	v_cndmask_b32_e32 v5, v5, v49, vcc_lo
	v_cmp_gt_f32_e32 vcc_lo, v49, v4
	v_cndmask_b32_e32 v4, v4, v49, vcc_lo
	s_wait_loadcnt 0x1
	s_delay_alu instid0(VALU_DEP_3) | instskip(SKIP_1) | instid1(VALU_DEP_3)
	v_cmp_gt_f32_e32 vcc_lo, v5, v50
	v_cndmask_b32_e32 v5, v5, v50, vcc_lo
	v_cmp_gt_f32_e32 vcc_lo, v50, v4
	v_cndmask_b32_e32 v4, v4, v50, vcc_lo
	s_delay_alu instid0(VALU_DEP_3) | instskip(SKIP_1) | instid1(VALU_DEP_3)
	v_cmp_gt_f32_e32 vcc_lo, v5, v51
	v_cndmask_b32_e32 v5, v5, v51, vcc_lo
	v_cmp_gt_f32_e32 vcc_lo, v51, v4
	v_cndmask_b32_e32 v4, v4, v51, vcc_lo
	;; [unrolled: 5-line block ×4, first 2 shown]
	s_wait_loadcnt 0x0
	s_delay_alu instid0(VALU_DEP_3) | instskip(SKIP_1) | instid1(VALU_DEP_3)
	v_cmp_gt_f32_e32 vcc_lo, v5, v0
	v_cndmask_b32_e32 v5, v5, v0, vcc_lo
	v_cmp_gt_f32_e32 vcc_lo, v0, v4
	v_cndmask_b32_e32 v0, v4, v0, vcc_lo
	s_delay_alu instid0(VALU_DEP_3) | instskip(SKIP_1) | instid1(VALU_DEP_3)
	v_cmp_gt_f32_e32 vcc_lo, v5, v1
	v_cndmask_b32_e32 v4, v5, v1, vcc_lo
	v_cmp_gt_f32_e32 vcc_lo, v1, v0
	v_cndmask_b32_e32 v5, v0, v1, vcc_lo
	s_delay_alu instid0(VALU_DEP_3)
	v_cmp_gt_f32_e32 vcc_lo, v4, v2
	v_mul_u64_e32 v[0:1], s[40:41], v[20:21]
	v_mul_lo_u32 v21, v21, s48
	v_cndmask_b32_e32 v4, v4, v2, vcc_lo
	v_cmp_gt_f32_e32 vcc_lo, v2, v5
	v_cndmask_b32_e32 v2, v5, v2, vcc_lo
	s_delay_alu instid0(VALU_DEP_3) | instskip(SKIP_1) | instid1(VALU_DEP_3)
	v_cmp_gt_f32_e32 vcc_lo, v4, v3
	v_cndmask_b32_e32 v9, v4, v3, vcc_lo
	v_cmp_gt_f32_e32 vcc_lo, v3, v2
	v_mul_u64_e32 v[4:5], s[50:51], v[14:15]
	v_cndmask_b32_e32 v2, v2, v3, vcc_lo
	s_delay_alu instid0(VALU_DEP_1) | instskip(NEXT) | instid1(VALU_DEP_1)
	v_sub_f32_e32 v30, v2, v9
	v_div_scale_f32 v6, null, 0x41f80000, 0x41f80000, v30
	v_sub_nc_u64_e32 v[0:1], v[18:19], v[0:1]
	s_delay_alu instid0(VALU_DEP_2) | instskip(SKIP_1) | instid1(TRANS32_DEP_1)
	v_rcp_f32_e32 v7, v6
	v_nop
	v_fma_f32 v2, -v6, v7, 1.0
	s_delay_alu instid0(VALU_DEP_1) | instskip(SKIP_1) | instid1(VALU_DEP_1)
	v_fmac_f32_e32 v7, v2, v7
	v_div_scale_f32 v14, vcc_lo, v30, 0x41f80000, v30
	v_dual_mul_f32 v15, v14, v7 :: v_dual_ashrrev_i32 v2, 31, v1
	s_delay_alu instid0(VALU_DEP_1) | instskip(NEXT) | instid1(VALU_DEP_1)
	v_dual_mov_b32 v3, 0 :: v_dual_fma_f32 v18, -v6, v15, v14
	v_dual_fmac_f32 v15, v18, v7 :: v_dual_lshrrev_b32 v2, 27, v2
	s_delay_alu instid0(VALU_DEP_1) | instskip(SKIP_2) | instid1(VALU_DEP_3)
	v_add_nc_u64_e32 v[0:1], v[0:1], v[2:3]
	v_mul_lo_u32 v2, v12, s1
	s_mov_b32 s1, 0
	v_fma_f32 v6, -v6, v15, v14
	s_delay_alu instid0(VALU_DEP_3) | instskip(NEXT) | instid1(VALU_DEP_2)
	v_ashrrev_i64 v[0:1], 5, v[0:1]
	v_div_fmas_f32 v18, v6, v7, v15
	v_mad_nc_u64_u32 v[14:15], v12, s0, v[4:5]
	v_mad_nc_u64_u32 v[6:7], v8, s38, v[24:25]
	s_delay_alu instid0(VALU_DEP_3)
	v_div_fixup_f32 v24, v18, 0x41f80000, v30
	v_mul_lo_u32 v25, v1, s46
	v_mul_lo_u32 v1, v20, s49
	v_mad_nc_u64_u32 v[18:19], v0, s46, s[6:7]
	v_mul_lo_u32 v8, v0, s47
	v_div_scale_f32 v30, null, v24, v24, 1.0
	v_add3_u32 v15, v13, v15, v2
	v_add3_u32 v7, v29, v7, v28
	s_delay_alu instid0(VALU_DEP_3) | instskip(NEXT) | instid1(VALU_DEP_2)
	v_rcp_f32_e32 v28, v30
	v_mad_nc_u64_u32 v[14:15], v20, s48, v[14:15]
	s_delay_alu instid0(VALU_DEP_2) | instskip(SKIP_1) | instid1(TRANS32_DEP_1)
	v_mad_nc_u64_u32 v[6:7], v10, s18, v[6:7]
	v_add3_u32 v19, v25, v19, v8
	v_fma_f32 v10, -v30, v28, 1.0
	s_delay_alu instid0(VALU_DEP_2) | instskip(SKIP_2) | instid1(VALU_DEP_4)
	v_mad_nc_u64_u32 v[18:19], v20, s48, v[18:19]
	v_div_scale_f32 v20, vcc_lo, 1.0, v24, 1.0
	v_add3_u32 v15, v21, v15, v1
	v_fmac_f32_e32 v28, v10, v28
	v_add3_u32 v7, v11, v7, v27
	s_delay_alu instid0(VALU_DEP_3) | instskip(NEXT) | instid1(VALU_DEP_2)
	v_mad_nc_u64_u32 v[10:11], v0, s46, v[14:15]
	v_mad_nc_u64_u32 v[6:7], v22, s16, v[6:7]
	v_add3_u32 v19, v21, v19, v1
	s_delay_alu instid0(VALU_DEP_1) | instskip(NEXT) | instid1(VALU_DEP_4)
	v_add_nc_u64_e32 v[0:1], v[18:19], v[4:5]
	v_add3_u32 v11, v25, v11, v8
	v_dual_mov_b32 v8, v3 :: v_dual_mul_f32 v27, v20, v28
	v_add3_u32 v7, v23, v7, v26
	s_delay_alu instid0(VALU_DEP_4) | instskip(NEXT) | instid1(VALU_DEP_3)
	v_mad_nc_u64_u32 v[0:1], v12, s0, v[0:1]
	v_fma_f32 v14, -v30, v27, v20
	s_delay_alu instid0(VALU_DEP_3) | instskip(NEXT) | instid1(VALU_DEP_2)
	v_add_nc_u64_e32 v[6:7], s[4:5], v[6:7]
	v_fmac_f32_e32 v27, v14, v28
	s_delay_alu instid0(VALU_DEP_2) | instskip(SKIP_1) | instid1(VALU_DEP_3)
	v_add_nc_u64_e32 v[6:7], 64, v[6:7]
	v_add3_u32 v1, v13, v1, v2
	v_fma_f32 v4, -v30, v27, v20
	s_delay_alu instid0(VALU_DEP_1) | instskip(SKIP_3) | instid1(VALU_DEP_4)
	v_div_fmas_f32 v12, v4, v28, v27
	v_add_nc_u64_e32 v[4:5], s[6:7], v[10:11]
	v_cmp_neq_f32_e32 vcc_lo, 0, v24
	v_cvt_pk_f16_f32 v11, v24, v9
	v_div_fixup_f32 v10, v12, v24, 1.0
	global_store_b32 v[0:1], v11, off
	v_dual_cndmask_b32 v2, 0, v10, vcc_lo :: v_dual_mov_b32 v10, v3
.LBB8_26:                               ; =>This Inner Loop Header: Depth=1
	s_or_b32 s0, s2, 17
	s_delay_alu instid0(VALU_DEP_1)
	v_and_or_b32 v3, 0xffff, v3, v10
	v_lshl_add_u64 v[12:13], s[0:1], 2, v[16:17]
	s_add_co_i32 s4, s2, 16
	s_add_co_i32 s6, s2, 2
	;; [unrolled: 1-line block ×3, first 2 shown]
	v_and_b32_e32 v8, 0xff0000, v8
	global_load_b32 v11, v[12:13], off
	s_add_co_i32 s5, s2, 1
	s_wait_loadcnt 0x0
	v_sub_f32_e32 v11, v11, v9
	s_delay_alu instid0(VALU_DEP_1) | instskip(NEXT) | instid1(VALU_DEP_1)
	v_fma_f32 v11, v2, v11, 0.5
	v_cvt_i32_f32_e32 v11, v11
	s_wait_xcnt 0x0
	s_delay_alu instid0(VALU_DEP_1) | instskip(SKIP_1) | instid1(VALU_DEP_2)
	v_lshrrev_b16 v12, 4, v11
	v_lshlrev_b16 v11, 12, v11
	v_and_b32_e32 v12, 1, v12
	s_delay_alu instid0(VALU_DEP_1) | instskip(NEXT) | instid1(VALU_DEP_1)
	v_and_b32_e32 v12, 0xffff, v12
	v_lshlrev_b32_e32 v20, s0, v12
	s_or_b32 s0, s2, 18
	s_delay_alu instid0(SALU_CYCLE_1)
	v_lshl_add_u64 v[18:19], s[0:1], 2, v[16:17]
	global_load_b32 v21, v[18:19], off
	s_clause 0x1
	global_load_b128 v[12:15], v[6:7], off offset:-64
	global_load_b32 v22, v[6:7], off
	s_wait_xcnt 0x0
	v_add_nc_u64_e32 v[6:7], 16, v[6:7]
	s_wait_loadcnt 0x2
	v_sub_f32_e32 v18, v21, v9
	s_wait_loadcnt 0x1
	v_dual_sub_f32 v13, v13, v9 :: v_dual_sub_f32 v14, v14, v9
	s_wait_loadcnt 0x0
	v_dual_sub_f32 v10, v22, v9 :: v_dual_sub_f32 v12, v12, v9
	v_fma_f32 v18, v2, v18, 0.5
	s_delay_alu instid0(VALU_DEP_3) | instskip(SKIP_1) | instid1(VALU_DEP_4)
	v_fma_f32 v13, v2, v13, 0.5
	v_fma_f32 v14, v2, v14, 0.5
	v_fma_f32 v10, v2, v10, 0.5
	v_fma_f32 v12, v2, v12, 0.5
	v_cvt_i32_f32_e32 v21, v18
	v_cvt_i32_f32_e32 v13, v13
	;; [unrolled: 1-line block ×5, first 2 shown]
	v_lshrrev_b16 v18, 4, v21
	s_delay_alu instid0(VALU_DEP_4) | instskip(NEXT) | instid1(VALU_DEP_4)
	v_lshrrev_b16 v27, 4, v14
	v_lshlrev_b16 v22, 4, v10
	v_lshrrev_b16 v10, 4, v10
	s_delay_alu instid0(VALU_DEP_4) | instskip(SKIP_1) | instid1(VALU_DEP_4)
	v_dual_sub_f32 v15, v15, v9 :: v_dual_bitop2_b32 v18, 1, v18 bitop3:0x40
	v_lshrrev_b16 v25, 4, v12
	v_bitop3_b16 v12, v22, v12, 15 bitop3:0xf8
	s_delay_alu instid0(VALU_DEP_4) | instskip(NEXT) | instid1(VALU_DEP_4)
	v_and_b32_e32 v10, 1, v10
	v_and_b32_e32 v18, 0xffff, v18
	v_fma_f32 v15, v2, v15, 0.5
	s_delay_alu instid0(VALU_DEP_3) | instskip(NEXT) | instid1(VALU_DEP_3)
	v_and_b32_e32 v10, 0xffff, v10
	v_lshlrev_b32_e32 v23, s0, v18
	s_or_b32 s0, s2, 19
	s_delay_alu instid0(VALU_DEP_3)
	v_cvt_i32_f32_e32 v15, v15
	v_lshl_add_u64 v[18:19], s[0:1], 2, v[16:17]
	v_dual_lshlrev_b32 v10, s4, v10 :: v_dual_bitop2_b32 v22, 1, v25 bitop3:0x40
	global_load_b32 v24, v[18:19], off
	v_and_b32_e32 v28, 15, v15
	v_lshrrev_b16 v15, 4, v15
	s_wait_xcnt 0x0
	v_add_nc_u64_e32 v[18:19], s[2:3], v[4:5]
	v_and_b32_e32 v22, 0xffff, v22
	v_and_b32_e32 v26, 15, v13
	v_lshrrev_b16 v13, 4, v13
	s_delay_alu instid0(VALU_DEP_3) | instskip(NEXT) | instid1(VALU_DEP_3)
	v_dual_lshlrev_b32 v22, s2, v22 :: v_dual_bitop2_b32 v15, 1, v15 bitop3:0x40
	v_lshlrev_b16 v26, 8, v26
	s_add_nc_u64 s[2:3], s[2:3], 4
	s_delay_alu instid0(VALU_DEP_2)
	v_and_b32_e32 v15, 0xffff, v15
	v_and_b32_e32 v13, 1, v13
	s_cmp_lg_u32 s2, 16
	v_or3_b32 v3, v3, v8, v22
	v_lshlrev_b16 v8, 4, v21
	v_lshlrev_b32_e32 v15, s7, v15
	v_and_b32_e32 v13, 0xffff, v13
	v_and_b32_e32 v25, 1, v27
	s_delay_alu instid0(VALU_DEP_4) | instskip(NEXT) | instid1(VALU_DEP_3)
	v_bitop3_b16 v8, v8, v14, 15 bitop3:0xf8
	v_lshlrev_b32_e32 v13, s5, v13
	s_delay_alu instid0(VALU_DEP_3) | instskip(NEXT) | instid1(VALU_DEP_2)
	v_and_b32_e32 v25, 0xffff, v25
	v_or3_b32 v3, v3, v10, v13
	s_delay_alu instid0(VALU_DEP_2) | instskip(NEXT) | instid1(VALU_DEP_1)
	v_lshlrev_b32_e32 v25, s6, v25
	v_or3_b32 v3, v3, v20, v25
	s_delay_alu instid0(VALU_DEP_1) | instskip(SKIP_3) | instid1(VALU_DEP_2)
	v_or3_b32 v3, v3, v23, v15
	s_wait_loadcnt 0x0
	v_sub_f32_e32 v24, v24, v9
	v_lshlrev_b16 v27, 8, v28
	v_fma_f32 v24, v2, v24, 0.5
	s_delay_alu instid0(VALU_DEP_1) | instskip(NEXT) | instid1(VALU_DEP_1)
	v_cvt_i32_f32_e32 v24, v24
	v_lshlrev_b16 v21, 12, v24
	v_lshrrev_b16 v22, 4, v24
	s_delay_alu instid0(VALU_DEP_2) | instskip(NEXT) | instid1(VALU_DEP_2)
	v_or_b32_e32 v10, v21, v27
	v_and_b32_e32 v13, 1, v22
	s_delay_alu instid0(VALU_DEP_2) | instskip(SKIP_1) | instid1(VALU_DEP_3)
	v_bitop3_b16 v8, v8, v10, 0xff bitop3:0xec
	v_or_b32_e32 v11, v11, v26
	v_and_b32_e32 v10, 0xffff, v13
	s_delay_alu instid0(VALU_DEP_3) | instskip(NEXT) | instid1(VALU_DEP_3)
	v_lshlrev_b32_e32 v8, 16, v8
	v_bitop3_b16 v11, v12, v11, 0xff bitop3:0xec
	s_delay_alu instid0(VALU_DEP_1) | instskip(NEXT) | instid1(VALU_DEP_1)
	v_and_b32_e32 v11, 0xffff, v11
	v_dual_lshlrev_b32 v10, s0, v10 :: v_dual_bitop2_b32 v11, v11, v8 bitop3:0x54
	s_delay_alu instid0(VALU_DEP_1)
	v_or_b32_e32 v8, v3, v10
	v_bitop3_b32 v10, v3, 0xff000000, v10 bitop3:0xc8
	global_store_b32 v[18:19], v11, off offset:8
	s_cbranch_scc1 .LBB8_26
; %bb.27:
	v_bfi_b32 v2, 0xffff, v3, v8
	global_store_b32 v[0:1], v2, off offset:4
.LBB8_28:
	s_endpgm
	.section	.rodata,"a",@progbits
	.p2align	6, 0x0
	.amdhsa_kernel _ZL9cpy_f32_qIXadL_ZL17cpy_blck_f32_q5_1PKcPcEELi32EEvS1_S2_lllllllllllllll
		.amdhsa_group_segment_fixed_size 0
		.amdhsa_private_segment_fixed_size 0
		.amdhsa_kernarg_size 392
		.amdhsa_user_sgpr_count 2
		.amdhsa_user_sgpr_dispatch_ptr 0
		.amdhsa_user_sgpr_queue_ptr 0
		.amdhsa_user_sgpr_kernarg_segment_ptr 1
		.amdhsa_user_sgpr_dispatch_id 0
		.amdhsa_user_sgpr_kernarg_preload_length 0
		.amdhsa_user_sgpr_kernarg_preload_offset 0
		.amdhsa_user_sgpr_private_segment_size 0
		.amdhsa_wavefront_size32 1
		.amdhsa_uses_dynamic_stack 0
		.amdhsa_enable_private_segment 0
		.amdhsa_system_sgpr_workgroup_id_x 1
		.amdhsa_system_sgpr_workgroup_id_y 0
		.amdhsa_system_sgpr_workgroup_id_z 0
		.amdhsa_system_sgpr_workgroup_info 0
		.amdhsa_system_vgpr_workitem_id 0
		.amdhsa_next_free_vgpr 54
		.amdhsa_next_free_sgpr 52
		.amdhsa_named_barrier_count 0
		.amdhsa_reserve_vcc 1
		.amdhsa_float_round_mode_32 0
		.amdhsa_float_round_mode_16_64 0
		.amdhsa_float_denorm_mode_32 3
		.amdhsa_float_denorm_mode_16_64 3
		.amdhsa_fp16_overflow 0
		.amdhsa_memory_ordered 1
		.amdhsa_forward_progress 1
		.amdhsa_inst_pref_size 55
		.amdhsa_round_robin_scheduling 0
		.amdhsa_exception_fp_ieee_invalid_op 0
		.amdhsa_exception_fp_denorm_src 0
		.amdhsa_exception_fp_ieee_div_zero 0
		.amdhsa_exception_fp_ieee_overflow 0
		.amdhsa_exception_fp_ieee_underflow 0
		.amdhsa_exception_fp_ieee_inexact 0
		.amdhsa_exception_int_div_zero 0
	.end_amdhsa_kernel
	.section	.text._ZL9cpy_f32_qIXadL_ZL17cpy_blck_f32_q5_1PKcPcEELi32EEvS1_S2_lllllllllllllll,"axG",@progbits,_ZL9cpy_f32_qIXadL_ZL17cpy_blck_f32_q5_1PKcPcEELi32EEvS1_S2_lllllllllllllll,comdat
.Lfunc_end8:
	.size	_ZL9cpy_f32_qIXadL_ZL17cpy_blck_f32_q5_1PKcPcEELi32EEvS1_S2_lllllllllllllll, .Lfunc_end8-_ZL9cpy_f32_qIXadL_ZL17cpy_blck_f32_q5_1PKcPcEELi32EEvS1_S2_lllllllllllllll
                                        ; -- End function
	.set _ZL9cpy_f32_qIXadL_ZL17cpy_blck_f32_q5_1PKcPcEELi32EEvS1_S2_lllllllllllllll.num_vgpr, 54
	.set _ZL9cpy_f32_qIXadL_ZL17cpy_blck_f32_q5_1PKcPcEELi32EEvS1_S2_lllllllllllllll.num_agpr, 0
	.set _ZL9cpy_f32_qIXadL_ZL17cpy_blck_f32_q5_1PKcPcEELi32EEvS1_S2_lllllllllllllll.numbered_sgpr, 52
	.set _ZL9cpy_f32_qIXadL_ZL17cpy_blck_f32_q5_1PKcPcEELi32EEvS1_S2_lllllllllllllll.num_named_barrier, 0
	.set _ZL9cpy_f32_qIXadL_ZL17cpy_blck_f32_q5_1PKcPcEELi32EEvS1_S2_lllllllllllllll.private_seg_size, 0
	.set _ZL9cpy_f32_qIXadL_ZL17cpy_blck_f32_q5_1PKcPcEELi32EEvS1_S2_lllllllllllllll.uses_vcc, 1
	.set _ZL9cpy_f32_qIXadL_ZL17cpy_blck_f32_q5_1PKcPcEELi32EEvS1_S2_lllllllllllllll.uses_flat_scratch, 0
	.set _ZL9cpy_f32_qIXadL_ZL17cpy_blck_f32_q5_1PKcPcEELi32EEvS1_S2_lllllllllllllll.has_dyn_sized_stack, 0
	.set _ZL9cpy_f32_qIXadL_ZL17cpy_blck_f32_q5_1PKcPcEELi32EEvS1_S2_lllllllllllllll.has_recursion, 0
	.set _ZL9cpy_f32_qIXadL_ZL17cpy_blck_f32_q5_1PKcPcEELi32EEvS1_S2_lllllllllllllll.has_indirect_call, 0
	.section	.AMDGPU.csdata,"",@progbits
; Kernel info:
; codeLenInByte = 6956
; TotalNumSgprs: 54
; NumVgprs: 54
; ScratchSize: 0
; MemoryBound: 0
; FloatMode: 240
; IeeeMode: 1
; LDSByteSize: 0 bytes/workgroup (compile time only)
; SGPRBlocks: 0
; VGPRBlocks: 3
; NumSGPRsForWavesPerEU: 54
; NumVGPRsForWavesPerEU: 54
; NamedBarCnt: 0
; Occupancy: 16
; WaveLimiterHint : 0
; COMPUTE_PGM_RSRC2:SCRATCH_EN: 0
; COMPUTE_PGM_RSRC2:USER_SGPR: 2
; COMPUTE_PGM_RSRC2:TRAP_HANDLER: 0
; COMPUTE_PGM_RSRC2:TGID_X_EN: 1
; COMPUTE_PGM_RSRC2:TGID_Y_EN: 0
; COMPUTE_PGM_RSRC2:TGID_Z_EN: 0
; COMPUTE_PGM_RSRC2:TIDIG_COMP_CNT: 0
	.section	.text._ZL9cpy_q_f32IXadL_ZL14cpy_blck_q_f32IXadL_ZL15dequantize_q5_1PKvliR15HIP_vector_typeIfLj2EEEELi32EEvPKcPcEELi32EEvS7_S8_lllllllllllllll,"axG",@progbits,_ZL9cpy_q_f32IXadL_ZL14cpy_blck_q_f32IXadL_ZL15dequantize_q5_1PKvliR15HIP_vector_typeIfLj2EEEELi32EEvPKcPcEELi32EEvS7_S8_lllllllllllllll,comdat
	.globl	_ZL9cpy_q_f32IXadL_ZL14cpy_blck_q_f32IXadL_ZL15dequantize_q5_1PKvliR15HIP_vector_typeIfLj2EEEELi32EEvPKcPcEELi32EEvS7_S8_lllllllllllllll ; -- Begin function _ZL9cpy_q_f32IXadL_ZL14cpy_blck_q_f32IXadL_ZL15dequantize_q5_1PKvliR15HIP_vector_typeIfLj2EEEELi32EEvPKcPcEELi32EEvS7_S8_lllllllllllllll
	.p2align	8
	.type	_ZL9cpy_q_f32IXadL_ZL14cpy_blck_q_f32IXadL_ZL15dequantize_q5_1PKvliR15HIP_vector_typeIfLj2EEEELi32EEvPKcPcEELi32EEvS7_S8_lllllllllllllll,@function
_ZL9cpy_q_f32IXadL_ZL14cpy_blck_q_f32IXadL_ZL15dequantize_q5_1PKvliR15HIP_vector_typeIfLj2EEEELi32EEvPKcPcEELi32EEvS7_S8_lllllllllllllll: ; @_ZL9cpy_q_f32IXadL_ZL14cpy_blck_q_f32IXadL_ZL15dequantize_q5_1PKvliR15HIP_vector_typeIfLj2EEEELi32EEvPKcPcEELi32EEvS7_S8_lllllllllllllll
; %bb.0:
	s_load_b32 s2, s[0:1], 0x94
	s_bfe_u32 s3, ttmp6, 0x4000c
	v_mov_b32_e32 v2, 0
	s_add_co_i32 s3, s3, 1
	s_and_b32 s4, ttmp6, 15
	s_mul_i32 s3, ttmp9, s3
	s_getreg_b32 s5, hwreg(HW_REG_IB_STS2, 6, 4)
	v_mov_b32_e32 v1, v2
	s_add_co_i32 s3, s4, s3
	s_wait_kmcnt 0x0
	s_and_b32 s2, s2, 0xffff
	s_cmp_eq_u32 s5, 0
	s_load_b512 s[4:19], s[0:1], 0x0
	s_cselect_b32 s3, ttmp9, s3
	s_delay_alu instid0(SALU_CYCLE_1) | instskip(SKIP_1) | instid1(VALU_DEP_1)
	v_mad_nc_u64_u32 v[0:1], s2, s3, v[0:1]
	s_mov_b32 s2, exec_lo
	v_lshlrev_b64_e32 v[4:5], 5, v[0:1]
	s_wait_kmcnt 0x0
	s_delay_alu instid0(VALU_DEP_1)
	v_cmpx_gt_i64_e64 s[8:9], v[4:5]
	s_cbranch_execz .LBB9_26
; %bb.1:
	s_mul_u64 s[8:9], s[12:13], s[10:11]
                                        ; implicit-def: $vgpr0_vgpr1
	s_mov_b32 s2, exec_lo
	s_mul_u64 s[12:13], s[8:9], s[14:15]
	s_delay_alu instid0(SALU_CYCLE_1) | instskip(NEXT) | instid1(VALU_DEP_1)
	v_dual_ashrrev_i32 v8, 31, v5 :: v_dual_bitop2_b32 v3, s13, v5 bitop3:0x54
	v_cmpx_ne_u64_e32 0, v[2:3]
	s_xor_b32 s3, exec_lo, s2
	s_cbranch_execz .LBB9_3
; %bb.2:
	s_ashr_i32 s14, s13, 31
	s_mov_b32 s29, 0
	s_mov_b32 s15, s14
	v_dual_mov_b32 v9, v8 :: v_dual_mov_b32 v3, 0
	s_add_nc_u64 s[20:21], s[12:13], s[14:15]
	s_delay_alu instid0(SALU_CYCLE_1) | instskip(NEXT) | instid1(VALU_DEP_1)
	s_xor_b64 s[20:21], s[20:21], s[14:15]
	v_add_nc_u64_e32 v[0:1], v[4:5], v[8:9]
	s_cvt_f32_u32 s2, s20
	s_cvt_f32_u32 s15, s21
	s_sub_nc_u64 s[24:25], 0, s[20:21]
	v_dual_mov_b32 v7, v3 :: v_dual_mov_b32 v15, v3
	s_delay_alu instid0(SALU_CYCLE_1) | instskip(NEXT) | instid1(VALU_DEP_2)
	s_fmamk_f32 s2, s15, 0x4f800000, s2
	v_xor_b32_e32 v2, v0, v8
	v_xor_b32_e32 v6, v1, v8
	s_delay_alu instid0(SALU_CYCLE_1) | instskip(NEXT) | instid1(TRANS32_DEP_1)
	v_s_rcp_f32 s2, s2
	s_mul_f32 s2, s2, 0x5f7ffffc
	s_delay_alu instid0(SALU_CYCLE_3) | instskip(NEXT) | instid1(SALU_CYCLE_3)
	s_mul_f32 s15, s2, 0x2f800000
	s_trunc_f32 s15, s15
	s_delay_alu instid0(SALU_CYCLE_3) | instskip(SKIP_1) | instid1(SALU_CYCLE_2)
	s_fmamk_f32 s2, s15, 0xcf800000, s2
	s_cvt_u32_f32 s23, s15
	s_cvt_u32_f32 s22, s2
	s_delay_alu instid0(SALU_CYCLE_3) | instskip(NEXT) | instid1(SALU_CYCLE_1)
	s_mul_u64 s[26:27], s[24:25], s[22:23]
	s_mul_hi_u32 s31, s22, s27
	s_mul_i32 s30, s22, s27
	s_mul_hi_u32 s28, s22, s26
	s_mul_i32 s15, s23, s26
	s_add_nc_u64 s[30:31], s[28:29], s[30:31]
	s_mul_hi_u32 s2, s23, s26
	s_mul_hi_u32 s33, s23, s27
	s_add_co_u32 s15, s30, s15
	s_add_co_ci_u32 s28, s31, s2
	s_mul_i32 s26, s23, s27
	s_add_co_ci_u32 s27, s33, 0
	s_delay_alu instid0(SALU_CYCLE_1) | instskip(NEXT) | instid1(SALU_CYCLE_1)
	s_add_nc_u64 s[26:27], s[28:29], s[26:27]
	s_add_co_u32 s22, s22, s26
	s_cselect_b32 s2, -1, 0
	s_delay_alu instid0(SALU_CYCLE_1) | instskip(SKIP_1) | instid1(SALU_CYCLE_1)
	s_cmp_lg_u32 s2, 0
	s_add_co_ci_u32 s23, s23, s27
	s_mul_u64 s[24:25], s[24:25], s[22:23]
	s_delay_alu instid0(SALU_CYCLE_1)
	s_mul_hi_u32 s27, s22, s25
	s_mul_i32 s26, s22, s25
	s_mul_hi_u32 s28, s22, s24
	s_mul_i32 s15, s23, s24
	s_add_nc_u64 s[26:27], s[28:29], s[26:27]
	s_mul_hi_u32 s2, s23, s24
	s_mul_hi_u32 s30, s23, s25
	s_add_co_u32 s15, s26, s15
	s_add_co_ci_u32 s28, s27, s2
	s_mul_i32 s24, s23, s25
	s_add_co_ci_u32 s25, s30, 0
	s_delay_alu instid0(SALU_CYCLE_1) | instskip(NEXT) | instid1(SALU_CYCLE_1)
	s_add_nc_u64 s[24:25], s[28:29], s[24:25]
	s_add_co_u32 s2, s22, s24
	s_cselect_b32 s15, -1, 0
	v_nop
	v_mul_hi_u32 v14, v2, s2
	s_cmp_lg_u32 s15, 0
	s_add_co_ci_u32 s28, s23, s25
	s_mov_b64 s[22:23], 0xffffffff
	v_mul_u64_e32 v[10:11], s[28:29], v[2:3]
	s_and_b64 s[22:23], s[2:3], s[22:23]
	v_mul_u64_e32 v[12:13], s[28:29], v[6:7]
	v_mul_u64_e32 v[0:1], s[22:23], v[6:7]
	s_delay_alu instid0(VALU_DEP_3) | instskip(NEXT) | instid1(VALU_DEP_1)
	v_add_nc_u64_e32 v[10:11], v[14:15], v[10:11]
	v_add_co_u32 v0, vcc_lo, v10, v0
	s_delay_alu instid0(VALU_DEP_2) | instskip(SKIP_1) | instid1(VALU_DEP_1)
	v_add_co_ci_u32_e32 v14, vcc_lo, v11, v1, vcc_lo
	v_add_co_ci_u32_e32 v13, vcc_lo, 0, v13, vcc_lo
	v_add_nc_u64_e32 v[0:1], v[14:15], v[12:13]
	s_delay_alu instid0(VALU_DEP_1) | instskip(NEXT) | instid1(VALU_DEP_1)
	v_mul_u64_e32 v[10:11], s[20:21], v[0:1]
	v_sub_nc_u32_e32 v3, v6, v11
	s_delay_alu instid0(VALU_DEP_2) | instskip(NEXT) | instid1(VALU_DEP_1)
	v_sub_co_u32 v2, vcc_lo, v2, v10
	v_sub_co_ci_u32_e64 v9, null, v6, v11, vcc_lo
	s_delay_alu instid0(VALU_DEP_3) | instskip(NEXT) | instid1(VALU_DEP_3)
	v_subrev_co_ci_u32_e64 v3, null, s21, v3, vcc_lo
	v_sub_co_u32 v7, s2, v2, s20
	s_delay_alu instid0(VALU_DEP_1) | instskip(NEXT) | instid1(VALU_DEP_2)
	v_subrev_co_ci_u32_e64 v3, null, 0, v3, s2
	v_cmp_le_u32_e32 vcc_lo, s20, v7
	v_cndmask_b32_e64 v6, 0, -1, vcc_lo
	s_delay_alu instid0(VALU_DEP_3)
	v_cmp_le_u32_e32 vcc_lo, s21, v3
	v_cndmask_b32_e64 v7, 0, -1, vcc_lo
	v_cmp_le_u32_e32 vcc_lo, s20, v2
	v_cndmask_b32_e64 v10, 0, -1, vcc_lo
	;; [unrolled: 2-line block ×3, first 2 shown]
	v_cmp_eq_u32_e32 vcc_lo, s21, v3
	v_add_nc_u64_e32 v[2:3], 2, v[0:1]
	v_cndmask_b32_e32 v12, v7, v6, vcc_lo
	v_cmp_eq_u32_e32 vcc_lo, s21, v9
	v_add_nc_u64_e32 v[6:7], 1, v[0:1]
	v_cndmask_b32_e32 v9, v11, v10, vcc_lo
	s_delay_alu instid0(VALU_DEP_4) | instskip(NEXT) | instid1(VALU_DEP_3)
	v_cmp_ne_u32_e32 vcc_lo, 0, v12
	v_dual_cndmask_b32 v3, v7, v3 :: v_dual_cndmask_b32 v6, v6, v2
	v_xor_b32_e32 v2, s14, v8
	s_delay_alu instid0(VALU_DEP_4) | instskip(NEXT) | instid1(VALU_DEP_1)
	v_cmp_ne_u32_e64 s2, 0, v9
	v_dual_cndmask_b32 v1, v1, v3, s2 :: v_dual_cndmask_b32 v0, v0, v6, s2
	s_delay_alu instid0(VALU_DEP_1) | instskip(NEXT) | instid1(VALU_DEP_2)
	v_dual_mov_b32 v3, v2 :: v_dual_bitop2_b32 v1, v1, v2 bitop3:0x14
	v_xor_b32_e32 v0, v0, v2
	s_delay_alu instid0(VALU_DEP_1)
	v_sub_nc_u64_e32 v[0:1], v[0:1], v[2:3]
.LBB9_3:
	s_and_not1_saveexec_b32 s2, s3
	s_cbranch_execz .LBB9_5
; %bb.4:
	v_cvt_f32_u32_e32 v0, s12
	s_sub_co_i32 s3, 0, s12
	s_delay_alu instid0(VALU_DEP_1) | instskip(SKIP_1) | instid1(TRANS32_DEP_1)
	v_rcp_iflag_f32_e32 v0, v0
	v_nop
	v_mul_f32_e32 v0, 0x4f7ffffe, v0
	s_delay_alu instid0(VALU_DEP_1) | instskip(NEXT) | instid1(VALU_DEP_1)
	v_cvt_u32_f32_e32 v0, v0
	v_mul_lo_u32 v1, s3, v0
	s_delay_alu instid0(VALU_DEP_1) | instskip(NEXT) | instid1(VALU_DEP_1)
	v_mul_hi_u32 v1, v0, v1
	v_add_nc_u32_e32 v0, v0, v1
	s_delay_alu instid0(VALU_DEP_1) | instskip(NEXT) | instid1(VALU_DEP_1)
	v_mul_hi_u32 v0, v4, v0
	v_mul_lo_u32 v1, v0, s12
	s_delay_alu instid0(VALU_DEP_1) | instskip(NEXT) | instid1(VALU_DEP_1)
	v_dual_add_nc_u32 v2, 1, v0 :: v_dual_sub_nc_u32 v1, v4, v1
	v_subrev_nc_u32_e32 v3, s12, v1
	v_cmp_le_u32_e32 vcc_lo, s12, v1
	s_delay_alu instid0(VALU_DEP_2) | instskip(NEXT) | instid1(VALU_DEP_1)
	v_dual_cndmask_b32 v1, v1, v3 :: v_dual_cndmask_b32 v0, v0, v2
	v_cmp_le_u32_e32 vcc_lo, s12, v1
	s_delay_alu instid0(VALU_DEP_2) | instskip(NEXT) | instid1(VALU_DEP_1)
	v_dual_mov_b32 v1, 0 :: v_dual_add_nc_u32 v2, 1, v0
	v_cndmask_b32_e32 v0, v0, v2, vcc_lo
.LBB9_5:
	s_or_b32 exec_lo, exec_lo, s2
	s_delay_alu instid0(VALU_DEP_1) | instskip(SKIP_2) | instid1(VALU_DEP_2)
	v_mul_u64_e32 v[2:3], s[12:13], v[0:1]
	s_mov_b32 s2, exec_lo
	v_mov_b32_e32 v10, 0
	v_sub_nc_u64_e32 v[6:7], v[4:5], v[2:3]
                                        ; implicit-def: $vgpr2_vgpr3
	s_delay_alu instid0(VALU_DEP_1) | instskip(NEXT) | instid1(VALU_DEP_1)
	v_or_b32_e32 v11, s9, v7
	v_cmpx_ne_u64_e32 0, v[10:11]
	s_xor_b32 s3, exec_lo, s2
	s_cbranch_execz .LBB9_7
; %bb.6:
	s_ashr_i32 s12, s9, 31
	s_mov_b32 s27, 0
	s_mov_b32 s13, s12
	v_dual_mov_b32 v15, v10 :: v_dual_ashrrev_i32 v2, 31, v7
	s_add_nc_u64 s[14:15], s[8:9], s[12:13]
	v_dual_mov_b32 v23, v10 :: v_dual_mov_b32 v11, v10
	s_xor_b64 s[14:15], s[14:15], s[12:13]
	s_delay_alu instid0(VALU_DEP_2) | instskip(SKIP_3) | instid1(VALU_DEP_1)
	v_mov_b32_e32 v3, v2
	s_cvt_f32_u32 s2, s14
	s_cvt_f32_u32 s13, s15
	s_sub_nc_u64 s[22:23], 0, s[14:15]
	v_add_nc_u64_e32 v[12:13], v[6:7], v[2:3]
	s_delay_alu instid0(SALU_CYCLE_1) | instskip(SKIP_1) | instid1(SALU_CYCLE_2)
	s_fmamk_f32 s2, s13, 0x4f800000, s2
	v_mov_b32_e32 v17, v10
	v_s_rcp_f32 s2, s2
	s_delay_alu instid0(VALU_DEP_2) | instskip(NEXT) | instid1(VALU_DEP_3)
	v_xor_b32_e32 v14, v12, v2
	v_xor_b32_e32 v16, v13, v2
	;; [unrolled: 1-line block ×3, first 2 shown]
	s_delay_alu instid0(TRANS32_DEP_1) | instskip(NEXT) | instid1(SALU_CYCLE_3)
	s_mul_f32 s2, s2, 0x5f7ffffc
	s_mul_f32 s13, s2, 0x2f800000
	s_delay_alu instid0(SALU_CYCLE_3) | instskip(NEXT) | instid1(SALU_CYCLE_3)
	s_trunc_f32 s13, s13
	s_fmamk_f32 s2, s13, 0xcf800000, s2
	s_cvt_u32_f32 s21, s13
	s_delay_alu instid0(SALU_CYCLE_2) | instskip(NEXT) | instid1(SALU_CYCLE_3)
	s_cvt_u32_f32 s20, s2
	s_mul_u64 s[24:25], s[22:23], s[20:21]
	s_delay_alu instid0(SALU_CYCLE_1)
	s_mul_hi_u32 s29, s20, s25
	s_mul_i32 s28, s20, s25
	s_mul_hi_u32 s26, s20, s24
	s_mul_i32 s13, s21, s24
	s_add_nc_u64 s[28:29], s[26:27], s[28:29]
	s_mul_hi_u32 s2, s21, s24
	s_mul_hi_u32 s30, s21, s25
	s_add_co_u32 s13, s28, s13
	s_add_co_ci_u32 s26, s29, s2
	s_mul_i32 s24, s21, s25
	s_add_co_ci_u32 s25, s30, 0
	s_delay_alu instid0(SALU_CYCLE_1) | instskip(NEXT) | instid1(SALU_CYCLE_1)
	s_add_nc_u64 s[24:25], s[26:27], s[24:25]
	s_add_co_u32 s20, s20, s24
	s_cselect_b32 s2, -1, 0
	s_delay_alu instid0(SALU_CYCLE_1) | instskip(SKIP_1) | instid1(SALU_CYCLE_1)
	s_cmp_lg_u32 s2, 0
	s_add_co_ci_u32 s21, s21, s25
	s_mul_u64 s[22:23], s[22:23], s[20:21]
	s_delay_alu instid0(SALU_CYCLE_1)
	s_mul_hi_u32 s25, s20, s23
	s_mul_i32 s24, s20, s23
	s_mul_hi_u32 s26, s20, s22
	s_mul_i32 s13, s21, s22
	s_add_nc_u64 s[24:25], s[26:27], s[24:25]
	s_mul_hi_u32 s2, s21, s22
	s_mul_hi_u32 s28, s21, s23
	s_add_co_u32 s13, s24, s13
	s_add_co_ci_u32 s26, s25, s2
	s_mul_i32 s22, s21, s23
	s_add_co_ci_u32 s23, s28, 0
	s_delay_alu instid0(SALU_CYCLE_1) | instskip(NEXT) | instid1(SALU_CYCLE_1)
	s_add_nc_u64 s[22:23], s[26:27], s[22:23]
	s_add_co_u32 s2, s20, s22
	s_cselect_b32 s13, -1, 0
	v_mul_hi_u32 v22, v14, s2
	s_cmp_lg_u32 s13, 0
	s_add_co_ci_u32 s26, s21, s23
	s_mov_b64 s[20:21], 0xffffffff
	v_mul_u64_e32 v[18:19], s[26:27], v[14:15]
	s_and_b64 s[20:21], s[2:3], s[20:21]
	v_mul_u64_e32 v[20:21], s[26:27], v[16:17]
	v_mul_u64_e32 v[12:13], s[20:21], v[16:17]
	s_delay_alu instid0(VALU_DEP_3) | instskip(NEXT) | instid1(VALU_DEP_1)
	v_add_nc_u64_e32 v[18:19], v[22:23], v[18:19]
	v_add_co_u32 v3, vcc_lo, v18, v12
	s_delay_alu instid0(VALU_DEP_2) | instskip(SKIP_1) | instid1(VALU_DEP_1)
	v_add_co_ci_u32_e32 v10, vcc_lo, v19, v13, vcc_lo
	v_add_co_ci_u32_e32 v21, vcc_lo, 0, v21, vcc_lo
	v_add_nc_u64_e32 v[10:11], v[10:11], v[20:21]
	s_delay_alu instid0(VALU_DEP_1) | instskip(NEXT) | instid1(VALU_DEP_1)
	v_mul_u64_e32 v[12:13], s[14:15], v[10:11]
	v_sub_co_u32 v9, vcc_lo, v14, v12
	v_add_nc_u64_e32 v[14:15], 1, v[10:11]
	s_delay_alu instid0(VALU_DEP_3) | instskip(SKIP_1) | instid1(VALU_DEP_4)
	v_sub_nc_u32_e32 v3, v16, v13
	v_sub_co_ci_u32_e64 v16, null, v16, v13, vcc_lo
	v_sub_co_u32 v12, s2, v9, s14
	s_delay_alu instid0(VALU_DEP_3) | instskip(NEXT) | instid1(VALU_DEP_2)
	v_subrev_co_ci_u32_e64 v3, null, s15, v3, vcc_lo
	v_cmp_le_u32_e32 vcc_lo, s14, v12
	s_delay_alu instid0(VALU_DEP_2) | instskip(SKIP_1) | instid1(VALU_DEP_2)
	v_subrev_co_ci_u32_e64 v3, null, 0, v3, s2
	v_cndmask_b32_e64 v12, 0, -1, vcc_lo
	v_cmp_le_u32_e32 vcc_lo, s15, v3
	v_cndmask_b32_e64 v13, 0, -1, vcc_lo
	v_cmp_le_u32_e32 vcc_lo, s14, v9
	;; [unrolled: 2-line block ×3, first 2 shown]
	v_cndmask_b32_e64 v17, 0, -1, vcc_lo
	v_cmp_eq_u32_e32 vcc_lo, s15, v3
	v_cndmask_b32_e32 v3, v13, v12, vcc_lo
	v_cmp_eq_u32_e32 vcc_lo, s15, v16
	v_add_nc_u64_e32 v[12:13], 2, v[10:11]
	v_cndmask_b32_e32 v9, v17, v9, vcc_lo
	s_delay_alu instid0(VALU_DEP_4) | instskip(NEXT) | instid1(VALU_DEP_2)
	v_cmp_ne_u32_e32 vcc_lo, 0, v3
	v_cmp_ne_u32_e64 s2, 0, v9
	s_delay_alu instid0(VALU_DEP_4) | instskip(NEXT) | instid1(VALU_DEP_1)
	v_cndmask_b32_e32 v9, v14, v12, vcc_lo
	v_cndmask_b32_e64 v9, v10, v9, s2
	s_delay_alu instid0(VALU_DEP_1) | instskip(NEXT) | instid1(VALU_DEP_1)
	v_dual_cndmask_b32 v3, v15, v13, vcc_lo :: v_dual_bitop2_b32 v10, v9, v2 bitop3:0x14
	v_dual_cndmask_b32 v11, v11, v3, s2 :: v_dual_mov_b32 v3, v2
	s_delay_alu instid0(VALU_DEP_1) | instskip(NEXT) | instid1(VALU_DEP_1)
	v_xor_b32_e32 v11, v11, v2
	v_sub_nc_u64_e32 v[2:3], v[10:11], v[2:3]
.LBB9_7:
	s_and_not1_saveexec_b32 s2, s3
	s_cbranch_execz .LBB9_9
; %bb.8:
	v_cvt_f32_u32_e32 v2, s8
	s_sub_co_i32 s3, 0, s8
	s_delay_alu instid0(VALU_DEP_1) | instskip(SKIP_1) | instid1(TRANS32_DEP_1)
	v_rcp_iflag_f32_e32 v2, v2
	v_nop
	v_mul_f32_e32 v2, 0x4f7ffffe, v2
	s_delay_alu instid0(VALU_DEP_1) | instskip(NEXT) | instid1(VALU_DEP_1)
	v_cvt_u32_f32_e32 v2, v2
	v_mul_lo_u32 v3, s3, v2
	s_delay_alu instid0(VALU_DEP_1) | instskip(NEXT) | instid1(VALU_DEP_1)
	v_mul_hi_u32 v3, v2, v3
	v_add_nc_u32_e32 v2, v2, v3
	s_delay_alu instid0(VALU_DEP_1) | instskip(NEXT) | instid1(VALU_DEP_1)
	v_mul_hi_u32 v2, v6, v2
	v_mul_lo_u32 v3, v2, s8
	s_delay_alu instid0(VALU_DEP_1) | instskip(NEXT) | instid1(VALU_DEP_1)
	v_dual_add_nc_u32 v9, 1, v2 :: v_dual_sub_nc_u32 v3, v6, v3
	v_subrev_nc_u32_e32 v10, s8, v3
	v_cmp_le_u32_e32 vcc_lo, s8, v3
	s_delay_alu instid0(VALU_DEP_2) | instskip(NEXT) | instid1(VALU_DEP_1)
	v_dual_cndmask_b32 v3, v3, v10 :: v_dual_cndmask_b32 v2, v2, v9
	v_cmp_le_u32_e32 vcc_lo, s8, v3
	s_delay_alu instid0(VALU_DEP_2) | instskip(NEXT) | instid1(VALU_DEP_1)
	v_dual_add_nc_u32 v9, 1, v2 :: v_dual_mov_b32 v3, 0
	v_cndmask_b32_e32 v2, v2, v9, vcc_lo
.LBB9_9:
	s_or_b32 exec_lo, exec_lo, s2
	s_delay_alu instid0(VALU_DEP_1) | instskip(SKIP_2) | instid1(VALU_DEP_2)
	v_mul_u64_e32 v[10:11], s[8:9], v[2:3]
	s_mov_b32 s2, exec_lo
	v_mov_b32_e32 v12, 0
	v_sub_nc_u64_e32 v[6:7], v[6:7], v[10:11]
                                        ; implicit-def: $vgpr10_vgpr11
	s_delay_alu instid0(VALU_DEP_1) | instskip(NEXT) | instid1(VALU_DEP_1)
	v_or_b32_e32 v13, s11, v7
	v_cmpx_ne_u64_e32 0, v[12:13]
	s_xor_b32 s3, exec_lo, s2
	s_cbranch_execz .LBB9_11
; %bb.10:
	s_ashr_i32 s8, s11, 31
	s_mov_b32 s25, 0
	s_mov_b32 s9, s8
	v_dual_mov_b32 v17, v12 :: v_dual_ashrrev_i32 v10, 31, v7
	s_add_nc_u64 s[12:13], s[10:11], s[8:9]
	v_mov_b32_e32 v19, v12
	s_xor_b64 s[12:13], s[12:13], s[8:9]
	s_delay_alu instid0(VALU_DEP_2)
	v_mov_b32_e32 v11, v10
	s_cvt_f32_u32 s2, s12
	s_cvt_f32_u32 s9, s13
	s_sub_nc_u64 s[20:21], 0, s[12:13]
	v_mov_b32_e32 v25, v12
	v_add_nc_u64_e32 v[14:15], v[6:7], v[10:11]
	s_fmamk_f32 s2, s9, 0x4f800000, s2
	v_mov_b32_e32 v13, v12
	s_delay_alu instid0(SALU_CYCLE_2) | instskip(NEXT) | instid1(VALU_DEP_2)
	v_s_rcp_f32 s2, s2
	v_xor_b32_e32 v16, v14, v10
	s_delay_alu instid0(VALU_DEP_3) | instskip(SKIP_1) | instid1(TRANS32_DEP_1)
	v_xor_b32_e32 v18, v15, v10
	v_xor_b32_e32 v10, s8, v10
	s_mul_f32 s2, s2, 0x5f7ffffc
	s_delay_alu instid0(SALU_CYCLE_3) | instskip(NEXT) | instid1(SALU_CYCLE_3)
	s_mul_f32 s9, s2, 0x2f800000
	s_trunc_f32 s9, s9
	s_delay_alu instid0(SALU_CYCLE_3) | instskip(SKIP_1) | instid1(SALU_CYCLE_2)
	s_fmamk_f32 s2, s9, 0xcf800000, s2
	s_cvt_u32_f32 s15, s9
	s_cvt_u32_f32 s14, s2
	s_delay_alu instid0(SALU_CYCLE_3) | instskip(NEXT) | instid1(SALU_CYCLE_1)
	s_mul_u64 s[22:23], s[20:21], s[14:15]
	s_mul_hi_u32 s27, s14, s23
	s_mul_i32 s26, s14, s23
	s_mul_hi_u32 s24, s14, s22
	s_mul_i32 s9, s15, s22
	s_add_nc_u64 s[26:27], s[24:25], s[26:27]
	s_mul_hi_u32 s2, s15, s22
	s_mul_hi_u32 s28, s15, s23
	s_add_co_u32 s9, s26, s9
	s_add_co_ci_u32 s24, s27, s2
	s_mul_i32 s22, s15, s23
	s_add_co_ci_u32 s23, s28, 0
	s_delay_alu instid0(SALU_CYCLE_1) | instskip(NEXT) | instid1(SALU_CYCLE_1)
	s_add_nc_u64 s[22:23], s[24:25], s[22:23]
	s_add_co_u32 s14, s14, s22
	s_cselect_b32 s2, -1, 0
	s_delay_alu instid0(SALU_CYCLE_1) | instskip(SKIP_1) | instid1(SALU_CYCLE_1)
	s_cmp_lg_u32 s2, 0
	s_add_co_ci_u32 s15, s15, s23
	s_mul_u64 s[20:21], s[20:21], s[14:15]
	s_delay_alu instid0(SALU_CYCLE_1)
	s_mul_hi_u32 s23, s14, s21
	s_mul_i32 s22, s14, s21
	s_mul_hi_u32 s24, s14, s20
	s_mul_i32 s9, s15, s20
	s_add_nc_u64 s[22:23], s[24:25], s[22:23]
	s_mul_hi_u32 s2, s15, s20
	s_mul_hi_u32 s26, s15, s21
	s_add_co_u32 s9, s22, s9
	s_add_co_ci_u32 s24, s23, s2
	s_mul_i32 s20, s15, s21
	s_add_co_ci_u32 s21, s26, 0
	s_delay_alu instid0(SALU_CYCLE_1) | instskip(NEXT) | instid1(SALU_CYCLE_1)
	s_add_nc_u64 s[20:21], s[24:25], s[20:21]
	s_add_co_u32 s2, s14, s20
	s_cselect_b32 s9, -1, 0
	v_mul_hi_u32 v24, v16, s2
	s_cmp_lg_u32 s9, 0
	s_add_co_ci_u32 s24, s15, s21
	s_mov_b64 s[14:15], 0xffffffff
	v_mul_u64_e32 v[20:21], s[24:25], v[16:17]
	s_and_b64 s[14:15], s[2:3], s[14:15]
	v_mul_u64_e32 v[22:23], s[24:25], v[18:19]
	v_mul_u64_e32 v[14:15], s[14:15], v[18:19]
	s_delay_alu instid0(VALU_DEP_3) | instskip(NEXT) | instid1(VALU_DEP_1)
	v_add_nc_u64_e32 v[20:21], v[24:25], v[20:21]
	v_add_co_u32 v9, vcc_lo, v20, v14
	s_delay_alu instid0(VALU_DEP_2) | instskip(SKIP_1) | instid1(VALU_DEP_1)
	v_add_co_ci_u32_e32 v12, vcc_lo, v21, v15, vcc_lo
	v_add_co_ci_u32_e32 v23, vcc_lo, 0, v23, vcc_lo
	v_add_nc_u64_e32 v[12:13], v[12:13], v[22:23]
	s_delay_alu instid0(VALU_DEP_1) | instskip(NEXT) | instid1(VALU_DEP_1)
	v_mul_u64_e32 v[14:15], s[12:13], v[12:13]
	v_sub_co_u32 v11, vcc_lo, v16, v14
	v_add_nc_u64_e32 v[16:17], 1, v[12:13]
	s_delay_alu instid0(VALU_DEP_3) | instskip(SKIP_1) | instid1(VALU_DEP_4)
	v_sub_nc_u32_e32 v9, v18, v15
	v_sub_co_ci_u32_e64 v18, null, v18, v15, vcc_lo
	v_sub_co_u32 v14, s2, v11, s12
	s_delay_alu instid0(VALU_DEP_3) | instskip(NEXT) | instid1(VALU_DEP_2)
	v_subrev_co_ci_u32_e64 v9, null, s13, v9, vcc_lo
	v_cmp_le_u32_e32 vcc_lo, s12, v14
	s_delay_alu instid0(VALU_DEP_2) | instskip(SKIP_1) | instid1(VALU_DEP_2)
	v_subrev_co_ci_u32_e64 v9, null, 0, v9, s2
	v_cndmask_b32_e64 v14, 0, -1, vcc_lo
	v_cmp_le_u32_e32 vcc_lo, s13, v9
	v_cndmask_b32_e64 v15, 0, -1, vcc_lo
	v_cmp_le_u32_e32 vcc_lo, s12, v11
	;; [unrolled: 2-line block ×3, first 2 shown]
	v_cndmask_b32_e64 v19, 0, -1, vcc_lo
	v_cmp_eq_u32_e32 vcc_lo, s13, v9
	v_cndmask_b32_e32 v9, v15, v14, vcc_lo
	v_cmp_eq_u32_e32 vcc_lo, s13, v18
	v_add_nc_u64_e32 v[14:15], 2, v[12:13]
	v_cndmask_b32_e32 v11, v19, v11, vcc_lo
	s_delay_alu instid0(VALU_DEP_4) | instskip(NEXT) | instid1(VALU_DEP_2)
	v_cmp_ne_u32_e32 vcc_lo, 0, v9
	v_cmp_ne_u32_e64 s2, 0, v11
	s_delay_alu instid0(VALU_DEP_4) | instskip(NEXT) | instid1(VALU_DEP_1)
	v_dual_cndmask_b32 v9, v17, v15, vcc_lo :: v_dual_cndmask_b32 v11, v16, v14, vcc_lo
	v_dual_cndmask_b32 v12, v12, v11, s2 :: v_dual_mov_b32 v11, v10
	s_delay_alu instid0(VALU_DEP_1) | instskip(NEXT) | instid1(VALU_DEP_1)
	v_dual_cndmask_b32 v9, v13, v9, s2 :: v_dual_bitop2_b32 v12, v12, v10 bitop3:0x14
	v_xor_b32_e32 v13, v9, v10
	s_delay_alu instid0(VALU_DEP_1)
	v_sub_nc_u64_e32 v[10:11], v[12:13], v[10:11]
.LBB9_11:
	s_and_not1_saveexec_b32 s2, s3
	s_cbranch_execz .LBB9_13
; %bb.12:
	v_cvt_f32_u32_e32 v9, s10
	s_sub_co_i32 s3, 0, s10
	s_delay_alu instid0(VALU_DEP_1) | instskip(SKIP_1) | instid1(TRANS32_DEP_1)
	v_rcp_iflag_f32_e32 v9, v9
	v_nop
	v_mul_f32_e32 v9, 0x4f7ffffe, v9
	s_delay_alu instid0(VALU_DEP_1) | instskip(NEXT) | instid1(VALU_DEP_1)
	v_cvt_u32_f32_e32 v9, v9
	v_mul_lo_u32 v10, s3, v9
	s_delay_alu instid0(VALU_DEP_1) | instskip(NEXT) | instid1(VALU_DEP_1)
	v_mul_hi_u32 v10, v9, v10
	v_add_nc_u32_e32 v9, v9, v10
	s_delay_alu instid0(VALU_DEP_1) | instskip(NEXT) | instid1(VALU_DEP_1)
	v_mul_hi_u32 v9, v6, v9
	v_mul_lo_u32 v10, v9, s10
	s_delay_alu instid0(VALU_DEP_1) | instskip(NEXT) | instid1(VALU_DEP_1)
	v_dual_add_nc_u32 v11, 1, v9 :: v_dual_sub_nc_u32 v10, v6, v10
	v_subrev_nc_u32_e32 v12, s10, v10
	v_cmp_le_u32_e32 vcc_lo, s10, v10
	s_delay_alu instid0(VALU_DEP_2) | instskip(NEXT) | instid1(VALU_DEP_1)
	v_dual_cndmask_b32 v10, v10, v12 :: v_dual_cndmask_b32 v9, v9, v11
	v_cmp_le_u32_e32 vcc_lo, s10, v10
	s_delay_alu instid0(VALU_DEP_2) | instskip(NEXT) | instid1(VALU_DEP_1)
	v_add_nc_u32_e32 v11, 1, v9
	v_dual_cndmask_b32 v10, v9, v11 :: v_dual_mov_b32 v11, 0
.LBB9_13:
	s_or_b32 exec_lo, exec_lo, s2
	s_load_b512 s[36:51], s[0:1], 0x40
                                        ; implicit-def: $vgpr12_vgpr13
	s_mov_b32 s2, exec_lo
	v_mov_b32_e32 v14, 0
	s_wait_kmcnt 0x0
	s_mul_u64 s[8:9], s[42:43], s[40:41]
	s_delay_alu instid0(SALU_CYCLE_1) | instskip(NEXT) | instid1(SALU_CYCLE_1)
	s_mul_u64 s[12:13], s[8:9], s[44:45]
	v_or_b32_e32 v15, s13, v5
	s_delay_alu instid0(VALU_DEP_1)
	v_cmpx_ne_u64_e32 0, v[14:15]
	s_xor_b32 s3, exec_lo, s2
	s_cbranch_execz .LBB9_15
; %bb.14:
	s_ashr_i32 s14, s13, 31
	s_mov_b32 s29, 0
	s_mov_b32 s15, s14
	v_dual_mov_b32 v9, v8 :: v_dual_mov_b32 v17, v14
	s_add_nc_u64 s[20:21], s[12:13], s[14:15]
	v_mov_b32_e32 v15, v14
	s_xor_b64 s[20:21], s[20:21], s[14:15]
	s_delay_alu instid0(VALU_DEP_2) | instskip(SKIP_4) | instid1(SALU_CYCLE_1)
	v_add_nc_u64_e32 v[12:13], v[4:5], v[8:9]
	s_cvt_f32_u32 s2, s20
	s_cvt_f32_u32 s15, s21
	s_sub_nc_u64 s[24:25], 0, s[20:21]
	v_dual_mov_b32 v19, v14 :: v_dual_mov_b32 v25, v14
	s_fmamk_f32 s2, s15, 0x4f800000, s2
	s_delay_alu instid0(VALU_DEP_2) | instskip(SKIP_3) | instid1(TRANS32_DEP_1)
	v_xor_b32_e32 v16, v12, v8
	v_xor_b32_e32 v18, v13, v8
	;; [unrolled: 1-line block ×3, first 2 shown]
	v_s_rcp_f32 s2, s2
	s_mul_f32 s2, s2, 0x5f7ffffc
	s_delay_alu instid0(SALU_CYCLE_3) | instskip(NEXT) | instid1(SALU_CYCLE_3)
	s_mul_f32 s15, s2, 0x2f800000
	s_trunc_f32 s15, s15
	s_delay_alu instid0(SALU_CYCLE_3) | instskip(SKIP_1) | instid1(SALU_CYCLE_2)
	s_fmamk_f32 s2, s15, 0xcf800000, s2
	s_cvt_u32_f32 s23, s15
	s_cvt_u32_f32 s22, s2
	s_delay_alu instid0(SALU_CYCLE_3) | instskip(NEXT) | instid1(SALU_CYCLE_1)
	s_mul_u64 s[26:27], s[24:25], s[22:23]
	s_mul_hi_u32 s31, s22, s27
	s_mul_i32 s30, s22, s27
	s_mul_hi_u32 s28, s22, s26
	s_mul_i32 s15, s23, s26
	s_add_nc_u64 s[30:31], s[28:29], s[30:31]
	s_mul_hi_u32 s2, s23, s26
	s_mul_hi_u32 s33, s23, s27
	s_add_co_u32 s15, s30, s15
	s_add_co_ci_u32 s28, s31, s2
	s_mul_i32 s26, s23, s27
	s_add_co_ci_u32 s27, s33, 0
	s_delay_alu instid0(SALU_CYCLE_1) | instskip(NEXT) | instid1(SALU_CYCLE_1)
	s_add_nc_u64 s[26:27], s[28:29], s[26:27]
	s_add_co_u32 s22, s22, s26
	s_cselect_b32 s2, -1, 0
	s_delay_alu instid0(SALU_CYCLE_1) | instskip(SKIP_1) | instid1(SALU_CYCLE_1)
	s_cmp_lg_u32 s2, 0
	s_add_co_ci_u32 s23, s23, s27
	s_mul_u64 s[24:25], s[24:25], s[22:23]
	s_delay_alu instid0(SALU_CYCLE_1)
	s_mul_hi_u32 s27, s22, s25
	s_mul_i32 s26, s22, s25
	s_mul_hi_u32 s28, s22, s24
	s_mul_i32 s15, s23, s24
	s_add_nc_u64 s[26:27], s[28:29], s[26:27]
	s_mul_hi_u32 s2, s23, s24
	s_mul_hi_u32 s30, s23, s25
	s_add_co_u32 s15, s26, s15
	s_add_co_ci_u32 s28, s27, s2
	s_mul_i32 s24, s23, s25
	s_add_co_ci_u32 s25, s30, 0
	s_delay_alu instid0(SALU_CYCLE_1) | instskip(NEXT) | instid1(SALU_CYCLE_1)
	s_add_nc_u64 s[24:25], s[28:29], s[24:25]
	s_add_co_u32 s2, s22, s24
	s_cselect_b32 s15, -1, 0
	v_nop
	v_mul_hi_u32 v24, v16, s2
	s_cmp_lg_u32 s15, 0
	s_add_co_ci_u32 s28, s23, s25
	s_mov_b64 s[22:23], 0xffffffff
	v_mul_u64_e32 v[20:21], s[28:29], v[16:17]
	s_and_b64 s[22:23], s[2:3], s[22:23]
	v_mul_u64_e32 v[22:23], s[28:29], v[18:19]
	v_mul_u64_e32 v[12:13], s[22:23], v[18:19]
	s_delay_alu instid0(VALU_DEP_3) | instskip(NEXT) | instid1(VALU_DEP_1)
	v_add_nc_u64_e32 v[20:21], v[24:25], v[20:21]
	v_add_co_u32 v9, vcc_lo, v20, v12
	s_delay_alu instid0(VALU_DEP_2) | instskip(SKIP_1) | instid1(VALU_DEP_1)
	v_add_co_ci_u32_e32 v14, vcc_lo, v21, v13, vcc_lo
	v_add_co_ci_u32_e32 v23, vcc_lo, 0, v23, vcc_lo
	v_add_nc_u64_e32 v[12:13], v[14:15], v[22:23]
	s_delay_alu instid0(VALU_DEP_1) | instskip(NEXT) | instid1(VALU_DEP_1)
	v_mul_u64_e32 v[14:15], s[20:21], v[12:13]
	v_sub_nc_u32_e32 v9, v18, v15
	s_delay_alu instid0(VALU_DEP_2) | instskip(NEXT) | instid1(VALU_DEP_1)
	v_sub_co_u32 v14, vcc_lo, v16, v14
	v_sub_co_ci_u32_e64 v18, null, v18, v15, vcc_lo
	s_delay_alu instid0(VALU_DEP_3) | instskip(NEXT) | instid1(VALU_DEP_3)
	v_subrev_co_ci_u32_e64 v9, null, s21, v9, vcc_lo
	v_sub_co_u32 v16, s2, v14, s20
	s_delay_alu instid0(VALU_DEP_1) | instskip(NEXT) | instid1(VALU_DEP_2)
	v_subrev_co_ci_u32_e64 v9, null, 0, v9, s2
	v_cmp_le_u32_e32 vcc_lo, s20, v16
	v_cndmask_b32_e64 v15, 0, -1, vcc_lo
	s_delay_alu instid0(VALU_DEP_3)
	v_cmp_le_u32_e32 vcc_lo, s21, v9
	v_cndmask_b32_e64 v16, 0, -1, vcc_lo
	v_cmp_le_u32_e32 vcc_lo, s20, v14
	v_cndmask_b32_e64 v19, 0, -1, vcc_lo
	;; [unrolled: 2-line block ×3, first 2 shown]
	v_cmp_eq_u32_e32 vcc_lo, s21, v9
	v_cndmask_b32_e32 v9, v16, v15, vcc_lo
	v_cmp_eq_u32_e32 vcc_lo, s21, v18
	v_add_nc_u64_e32 v[14:15], 2, v[12:13]
	v_add_nc_u64_e32 v[16:17], 1, v[12:13]
	v_cndmask_b32_e32 v18, v20, v19, vcc_lo
	v_cmp_ne_u32_e32 vcc_lo, 0, v9
	s_delay_alu instid0(VALU_DEP_2) | instskip(NEXT) | instid1(VALU_DEP_4)
	v_cmp_ne_u32_e64 s2, 0, v18
	v_dual_cndmask_b32 v14, v16, v14 :: v_dual_cndmask_b32 v9, v17, v15
	s_delay_alu instid0(VALU_DEP_1) | instskip(SKIP_1) | instid1(VALU_DEP_2)
	v_dual_cndmask_b32 v12, v12, v14, s2 :: v_dual_cndmask_b32 v13, v13, v9, s2
	v_mov_b32_e32 v9, v8
	v_xor_b32_e32 v12, v12, v8
	s_delay_alu instid0(VALU_DEP_3) | instskip(NEXT) | instid1(VALU_DEP_1)
	v_xor_b32_e32 v13, v13, v8
	v_sub_nc_u64_e32 v[12:13], v[12:13], v[8:9]
.LBB9_15:
	s_and_not1_saveexec_b32 s2, s3
	s_cbranch_execz .LBB9_17
; %bb.16:
	v_cvt_f32_u32_e32 v8, s12
	s_sub_co_i32 s3, 0, s12
	s_delay_alu instid0(VALU_DEP_1) | instskip(SKIP_1) | instid1(TRANS32_DEP_1)
	v_rcp_iflag_f32_e32 v8, v8
	v_nop
	v_mul_f32_e32 v8, 0x4f7ffffe, v8
	s_delay_alu instid0(VALU_DEP_1) | instskip(NEXT) | instid1(VALU_DEP_1)
	v_cvt_u32_f32_e32 v8, v8
	v_mul_lo_u32 v9, s3, v8
	s_delay_alu instid0(VALU_DEP_1) | instskip(NEXT) | instid1(VALU_DEP_1)
	v_mul_hi_u32 v9, v8, v9
	v_add_nc_u32_e32 v8, v8, v9
	s_delay_alu instid0(VALU_DEP_1) | instskip(NEXT) | instid1(VALU_DEP_1)
	v_mul_hi_u32 v8, v4, v8
	v_mul_lo_u32 v9, v8, s12
	s_delay_alu instid0(VALU_DEP_1) | instskip(NEXT) | instid1(VALU_DEP_1)
	v_sub_nc_u32_e32 v9, v4, v9
	v_subrev_nc_u32_e32 v13, s12, v9
	v_cmp_le_u32_e32 vcc_lo, s12, v9
	s_delay_alu instid0(VALU_DEP_2) | instskip(NEXT) | instid1(VALU_DEP_1)
	v_dual_cndmask_b32 v9, v9, v13 :: v_dual_add_nc_u32 v12, 1, v8
	v_dual_cndmask_b32 v8, v8, v12 :: v_dual_mov_b32 v13, 0
	s_delay_alu instid0(VALU_DEP_2) | instskip(NEXT) | instid1(VALU_DEP_2)
	v_cmp_le_u32_e32 vcc_lo, s12, v9
	v_add_nc_u32_e32 v12, 1, v8
	s_delay_alu instid0(VALU_DEP_1)
	v_cndmask_b32_e32 v12, v8, v12, vcc_lo
.LBB9_17:
	s_or_b32 exec_lo, exec_lo, s2
	s_delay_alu instid0(VALU_DEP_1) | instskip(SKIP_2) | instid1(VALU_DEP_2)
	v_mul_u64_e32 v[8:9], s[12:13], v[12:13]
	s_mov_b32 s2, exec_lo
	v_mov_b32_e32 v14, 0
	v_sub_nc_u64_e32 v[8:9], v[4:5], v[8:9]
                                        ; implicit-def: $vgpr4_vgpr5
	s_delay_alu instid0(VALU_DEP_1) | instskip(NEXT) | instid1(VALU_DEP_1)
	v_or_b32_e32 v15, s9, v9
	v_cmpx_ne_u64_e32 0, v[14:15]
	s_xor_b32 s3, exec_lo, s2
	s_cbranch_execz .LBB9_19
; %bb.18:
	s_ashr_i32 s12, s9, 31
	s_mov_b32 s27, 0
	s_mov_b32 s13, s12
	v_dual_mov_b32 v19, v14 :: v_dual_ashrrev_i32 v4, 31, v9
	s_add_nc_u64 s[14:15], s[8:9], s[12:13]
	v_mov_b32_e32 v21, v14
	s_xor_b64 s[14:15], s[14:15], s[12:13]
	s_delay_alu instid0(VALU_DEP_2)
	v_mov_b32_e32 v5, v4
	s_cvt_f32_u32 s2, s14
	s_cvt_f32_u32 s13, s15
	s_sub_nc_u64 s[22:23], 0, s[14:15]
	v_mov_b32_e32 v27, v14
	v_add_nc_u64_e32 v[16:17], v[8:9], v[4:5]
	s_fmamk_f32 s2, s13, 0x4f800000, s2
	v_mov_b32_e32 v15, v14
	s_delay_alu instid0(SALU_CYCLE_2) | instskip(NEXT) | instid1(VALU_DEP_2)
	v_s_rcp_f32 s2, s2
	v_xor_b32_e32 v18, v16, v4
	s_delay_alu instid0(VALU_DEP_3) | instskip(SKIP_1) | instid1(TRANS32_DEP_1)
	v_xor_b32_e32 v20, v17, v4
	v_xor_b32_e32 v4, s12, v4
	s_mul_f32 s2, s2, 0x5f7ffffc
	s_delay_alu instid0(SALU_CYCLE_3) | instskip(NEXT) | instid1(SALU_CYCLE_3)
	s_mul_f32 s13, s2, 0x2f800000
	s_trunc_f32 s13, s13
	s_delay_alu instid0(SALU_CYCLE_3) | instskip(SKIP_1) | instid1(SALU_CYCLE_2)
	s_fmamk_f32 s2, s13, 0xcf800000, s2
	s_cvt_u32_f32 s21, s13
	s_cvt_u32_f32 s20, s2
	s_delay_alu instid0(SALU_CYCLE_3) | instskip(NEXT) | instid1(SALU_CYCLE_1)
	s_mul_u64 s[24:25], s[22:23], s[20:21]
	s_mul_hi_u32 s29, s20, s25
	s_mul_i32 s28, s20, s25
	s_mul_hi_u32 s26, s20, s24
	s_mul_i32 s13, s21, s24
	s_add_nc_u64 s[28:29], s[26:27], s[28:29]
	s_mul_hi_u32 s2, s21, s24
	s_mul_hi_u32 s30, s21, s25
	s_add_co_u32 s13, s28, s13
	s_add_co_ci_u32 s26, s29, s2
	s_mul_i32 s24, s21, s25
	s_add_co_ci_u32 s25, s30, 0
	s_delay_alu instid0(SALU_CYCLE_1) | instskip(NEXT) | instid1(SALU_CYCLE_1)
	s_add_nc_u64 s[24:25], s[26:27], s[24:25]
	s_add_co_u32 s20, s20, s24
	s_cselect_b32 s2, -1, 0
	s_delay_alu instid0(SALU_CYCLE_1) | instskip(SKIP_1) | instid1(SALU_CYCLE_1)
	s_cmp_lg_u32 s2, 0
	s_add_co_ci_u32 s21, s21, s25
	s_mul_u64 s[22:23], s[22:23], s[20:21]
	s_delay_alu instid0(SALU_CYCLE_1)
	s_mul_hi_u32 s25, s20, s23
	s_mul_i32 s24, s20, s23
	s_mul_hi_u32 s26, s20, s22
	s_mul_i32 s13, s21, s22
	s_add_nc_u64 s[24:25], s[26:27], s[24:25]
	s_mul_hi_u32 s2, s21, s22
	s_mul_hi_u32 s28, s21, s23
	s_add_co_u32 s13, s24, s13
	s_add_co_ci_u32 s26, s25, s2
	s_mul_i32 s22, s21, s23
	s_add_co_ci_u32 s23, s28, 0
	s_delay_alu instid0(SALU_CYCLE_1) | instskip(NEXT) | instid1(SALU_CYCLE_1)
	s_add_nc_u64 s[22:23], s[26:27], s[22:23]
	s_add_co_u32 s2, s20, s22
	s_cselect_b32 s13, -1, 0
	v_mul_hi_u32 v26, v18, s2
	s_cmp_lg_u32 s13, 0
	s_add_co_ci_u32 s26, s21, s23
	s_mov_b64 s[20:21], 0xffffffff
	v_mul_u64_e32 v[22:23], s[26:27], v[18:19]
	s_and_b64 s[20:21], s[2:3], s[20:21]
	v_mul_u64_e32 v[24:25], s[26:27], v[20:21]
	v_mul_u64_e32 v[16:17], s[20:21], v[20:21]
	s_delay_alu instid0(VALU_DEP_3) | instskip(NEXT) | instid1(VALU_DEP_1)
	v_add_nc_u64_e32 v[22:23], v[26:27], v[22:23]
	v_add_co_u32 v5, vcc_lo, v22, v16
	s_delay_alu instid0(VALU_DEP_2) | instskip(SKIP_1) | instid1(VALU_DEP_1)
	v_add_co_ci_u32_e32 v14, vcc_lo, v23, v17, vcc_lo
	v_add_co_ci_u32_e32 v25, vcc_lo, 0, v25, vcc_lo
	v_add_nc_u64_e32 v[14:15], v[14:15], v[24:25]
	s_delay_alu instid0(VALU_DEP_1) | instskip(NEXT) | instid1(VALU_DEP_1)
	v_mul_u64_e32 v[16:17], s[14:15], v[14:15]
	v_sub_nc_u32_e32 v5, v20, v17
	s_delay_alu instid0(VALU_DEP_2) | instskip(NEXT) | instid1(VALU_DEP_1)
	v_sub_co_u32 v16, vcc_lo, v18, v16
	v_sub_co_ci_u32_e64 v20, null, v20, v17, vcc_lo
	s_delay_alu instid0(VALU_DEP_3) | instskip(NEXT) | instid1(VALU_DEP_3)
	v_subrev_co_ci_u32_e64 v5, null, s15, v5, vcc_lo
	v_sub_co_u32 v18, s2, v16, s14
	s_delay_alu instid0(VALU_DEP_1) | instskip(NEXT) | instid1(VALU_DEP_2)
	v_subrev_co_ci_u32_e64 v5, null, 0, v5, s2
	v_cmp_le_u32_e32 vcc_lo, s14, v18
	v_cndmask_b32_e64 v17, 0, -1, vcc_lo
	s_delay_alu instid0(VALU_DEP_3)
	v_cmp_le_u32_e32 vcc_lo, s15, v5
	v_cndmask_b32_e64 v18, 0, -1, vcc_lo
	v_cmp_le_u32_e32 vcc_lo, s14, v16
	v_cndmask_b32_e64 v21, 0, -1, vcc_lo
	;; [unrolled: 2-line block ×3, first 2 shown]
	v_cmp_eq_u32_e32 vcc_lo, s15, v5
	v_cndmask_b32_e32 v5, v18, v17, vcc_lo
	v_cmp_eq_u32_e32 vcc_lo, s15, v20
	v_add_nc_u64_e32 v[16:17], 2, v[14:15]
	v_add_nc_u64_e32 v[18:19], 1, v[14:15]
	v_cndmask_b32_e32 v20, v22, v21, vcc_lo
	v_cmp_ne_u32_e32 vcc_lo, 0, v5
	s_delay_alu instid0(VALU_DEP_2) | instskip(NEXT) | instid1(VALU_DEP_4)
	v_cmp_ne_u32_e64 s2, 0, v20
	v_dual_cndmask_b32 v16, v18, v16 :: v_dual_cndmask_b32 v5, v19, v17
	s_delay_alu instid0(VALU_DEP_1) | instskip(NEXT) | instid1(VALU_DEP_1)
	v_dual_cndmask_b32 v14, v14, v16, s2 :: v_dual_cndmask_b32 v15, v15, v5, s2
	v_dual_mov_b32 v5, v4 :: v_dual_bitop2_b32 v14, v14, v4 bitop3:0x14
	s_delay_alu instid0(VALU_DEP_2) | instskip(NEXT) | instid1(VALU_DEP_1)
	v_xor_b32_e32 v15, v15, v4
	v_sub_nc_u64_e32 v[4:5], v[14:15], v[4:5]
.LBB9_19:
	s_and_not1_saveexec_b32 s2, s3
	s_cbranch_execz .LBB9_21
; %bb.20:
	v_cvt_f32_u32_e32 v4, s8
	s_sub_co_i32 s3, 0, s8
	s_delay_alu instid0(VALU_DEP_1) | instskip(SKIP_1) | instid1(TRANS32_DEP_1)
	v_rcp_iflag_f32_e32 v4, v4
	v_nop
	v_mul_f32_e32 v4, 0x4f7ffffe, v4
	s_delay_alu instid0(VALU_DEP_1) | instskip(NEXT) | instid1(VALU_DEP_1)
	v_cvt_u32_f32_e32 v4, v4
	v_mul_lo_u32 v5, s3, v4
	s_delay_alu instid0(VALU_DEP_1) | instskip(NEXT) | instid1(VALU_DEP_1)
	v_mul_hi_u32 v5, v4, v5
	v_add_nc_u32_e32 v4, v4, v5
	s_delay_alu instid0(VALU_DEP_1) | instskip(NEXT) | instid1(VALU_DEP_1)
	v_mul_hi_u32 v4, v8, v4
	v_mul_lo_u32 v5, v4, s8
	s_delay_alu instid0(VALU_DEP_1) | instskip(NEXT) | instid1(VALU_DEP_1)
	v_dual_add_nc_u32 v14, 1, v4 :: v_dual_sub_nc_u32 v5, v8, v5
	v_subrev_nc_u32_e32 v15, s8, v5
	v_cmp_le_u32_e32 vcc_lo, s8, v5
	s_delay_alu instid0(VALU_DEP_2) | instskip(NEXT) | instid1(VALU_DEP_1)
	v_dual_cndmask_b32 v5, v5, v15 :: v_dual_cndmask_b32 v4, v4, v14
	v_cmp_le_u32_e32 vcc_lo, s8, v5
	s_delay_alu instid0(VALU_DEP_2) | instskip(NEXT) | instid1(VALU_DEP_1)
	v_dual_mov_b32 v5, 0 :: v_dual_add_nc_u32 v14, 1, v4
	v_cndmask_b32_e32 v4, v4, v14, vcc_lo
.LBB9_21:
	s_or_b32 exec_lo, exec_lo, s2
	s_delay_alu instid0(VALU_DEP_1) | instskip(SKIP_1) | instid1(VALU_DEP_1)
	v_mul_u64_e32 v[14:15], s[8:9], v[4:5]
                                        ; implicit-def: $vgpr16_vgpr17
	s_mov_b32 s2, exec_lo
	v_sub_nc_u64_e32 v[8:9], v[8:9], v[14:15]
	s_delay_alu instid0(VALU_DEP_1) | instskip(NEXT) | instid1(VALU_DEP_1)
	v_dual_mov_b32 v14, 0 :: v_dual_bitop2_b32 v15, s41, v9 bitop3:0x54
	v_cmpx_ne_u64_e32 0, v[14:15]
	s_xor_b32 s3, exec_lo, s2
	s_cbranch_execz .LBB9_23
; %bb.22:
	s_ashr_i32 s8, s41, 31
	s_mov_b32 s25, 0
	s_mov_b32 s9, s8
	v_dual_mov_b32 v21, v14 :: v_dual_ashrrev_i32 v16, 31, v9
	s_add_nc_u64 s[12:13], s[40:41], s[8:9]
	v_dual_mov_b32 v29, v14 :: v_dual_mov_b32 v15, v14
	s_xor_b64 s[12:13], s[12:13], s[8:9]
	s_delay_alu instid0(VALU_DEP_2) | instskip(SKIP_3) | instid1(VALU_DEP_1)
	v_mov_b32_e32 v17, v16
	s_cvt_f32_u32 s2, s12
	s_cvt_f32_u32 s9, s13
	s_sub_nc_u64 s[20:21], 0, s[12:13]
	v_add_nc_u64_e32 v[18:19], v[8:9], v[16:17]
	s_delay_alu instid0(SALU_CYCLE_1) | instskip(SKIP_1) | instid1(SALU_CYCLE_2)
	s_fmamk_f32 s2, s9, 0x4f800000, s2
	v_mov_b32_e32 v23, v14
	v_s_rcp_f32 s2, s2
	s_delay_alu instid0(VALU_DEP_2) | instskip(NEXT) | instid1(VALU_DEP_3)
	v_xor_b32_e32 v20, v18, v16
	v_xor_b32_e32 v22, v19, v16
	;; [unrolled: 1-line block ×3, first 2 shown]
	s_delay_alu instid0(TRANS32_DEP_1) | instskip(NEXT) | instid1(SALU_CYCLE_3)
	s_mul_f32 s2, s2, 0x5f7ffffc
	s_mul_f32 s9, s2, 0x2f800000
	s_delay_alu instid0(SALU_CYCLE_3) | instskip(NEXT) | instid1(SALU_CYCLE_3)
	s_trunc_f32 s9, s9
	s_fmamk_f32 s2, s9, 0xcf800000, s2
	s_cvt_u32_f32 s15, s9
	s_delay_alu instid0(SALU_CYCLE_2) | instskip(NEXT) | instid1(SALU_CYCLE_3)
	s_cvt_u32_f32 s14, s2
	s_mul_u64 s[22:23], s[20:21], s[14:15]
	s_delay_alu instid0(SALU_CYCLE_1)
	s_mul_hi_u32 s27, s14, s23
	s_mul_i32 s26, s14, s23
	s_mul_hi_u32 s24, s14, s22
	s_mul_i32 s9, s15, s22
	s_add_nc_u64 s[26:27], s[24:25], s[26:27]
	s_mul_hi_u32 s2, s15, s22
	s_mul_hi_u32 s28, s15, s23
	s_add_co_u32 s9, s26, s9
	s_add_co_ci_u32 s24, s27, s2
	s_mul_i32 s22, s15, s23
	s_add_co_ci_u32 s23, s28, 0
	s_delay_alu instid0(SALU_CYCLE_1) | instskip(NEXT) | instid1(SALU_CYCLE_1)
	s_add_nc_u64 s[22:23], s[24:25], s[22:23]
	s_add_co_u32 s14, s14, s22
	s_cselect_b32 s2, -1, 0
	s_delay_alu instid0(SALU_CYCLE_1) | instskip(SKIP_1) | instid1(SALU_CYCLE_1)
	s_cmp_lg_u32 s2, 0
	s_add_co_ci_u32 s15, s15, s23
	s_mul_u64 s[20:21], s[20:21], s[14:15]
	s_delay_alu instid0(SALU_CYCLE_1)
	s_mul_hi_u32 s23, s14, s21
	s_mul_i32 s22, s14, s21
	s_mul_hi_u32 s24, s14, s20
	s_mul_i32 s9, s15, s20
	s_add_nc_u64 s[22:23], s[24:25], s[22:23]
	s_mul_hi_u32 s2, s15, s20
	s_mul_hi_u32 s26, s15, s21
	s_add_co_u32 s9, s22, s9
	s_add_co_ci_u32 s24, s23, s2
	s_mul_i32 s20, s15, s21
	s_add_co_ci_u32 s21, s26, 0
	s_delay_alu instid0(SALU_CYCLE_1) | instskip(NEXT) | instid1(SALU_CYCLE_1)
	s_add_nc_u64 s[20:21], s[24:25], s[20:21]
	s_add_co_u32 s2, s14, s20
	s_cselect_b32 s9, -1, 0
	v_mul_hi_u32 v28, v20, s2
	s_cmp_lg_u32 s9, 0
	s_add_co_ci_u32 s24, s15, s21
	s_mov_b64 s[14:15], 0xffffffff
	v_mul_u64_e32 v[24:25], s[24:25], v[20:21]
	s_and_b64 s[14:15], s[2:3], s[14:15]
	v_mul_u64_e32 v[26:27], s[24:25], v[22:23]
	v_mul_u64_e32 v[18:19], s[14:15], v[22:23]
	s_delay_alu instid0(VALU_DEP_3) | instskip(NEXT) | instid1(VALU_DEP_1)
	v_add_nc_u64_e32 v[24:25], v[28:29], v[24:25]
	v_add_co_u32 v14, vcc_lo, v24, v18
	s_delay_alu instid0(VALU_DEP_2) | instskip(SKIP_1) | instid1(VALU_DEP_1)
	v_add_co_ci_u32_e32 v14, vcc_lo, v25, v19, vcc_lo
	v_add_co_ci_u32_e32 v27, vcc_lo, 0, v27, vcc_lo
	v_add_nc_u64_e32 v[14:15], v[14:15], v[26:27]
	s_delay_alu instid0(VALU_DEP_1) | instskip(NEXT) | instid1(VALU_DEP_1)
	v_mul_u64_e32 v[18:19], s[12:13], v[14:15]
	v_sub_nc_u32_e32 v17, v22, v19
	s_delay_alu instid0(VALU_DEP_2) | instskip(NEXT) | instid1(VALU_DEP_1)
	v_sub_co_u32 v18, vcc_lo, v20, v18
	v_sub_co_ci_u32_e64 v22, null, v22, v19, vcc_lo
	s_delay_alu instid0(VALU_DEP_3) | instskip(NEXT) | instid1(VALU_DEP_3)
	v_subrev_co_ci_u32_e64 v17, null, s13, v17, vcc_lo
	v_sub_co_u32 v20, s2, v18, s12
	s_delay_alu instid0(VALU_DEP_1) | instskip(NEXT) | instid1(VALU_DEP_2)
	v_subrev_co_ci_u32_e64 v17, null, 0, v17, s2
	v_cmp_le_u32_e32 vcc_lo, s12, v20
	v_cndmask_b32_e64 v19, 0, -1, vcc_lo
	s_delay_alu instid0(VALU_DEP_3)
	v_cmp_le_u32_e32 vcc_lo, s13, v17
	v_cndmask_b32_e64 v20, 0, -1, vcc_lo
	v_cmp_le_u32_e32 vcc_lo, s12, v18
	v_cndmask_b32_e64 v23, 0, -1, vcc_lo
	v_cmp_le_u32_e32 vcc_lo, s13, v22
	v_cndmask_b32_e64 v24, 0, -1, vcc_lo
	v_cmp_eq_u32_e32 vcc_lo, s13, v17
	v_cndmask_b32_e32 v17, v20, v19, vcc_lo
	v_cmp_eq_u32_e32 vcc_lo, s13, v22
	v_add_nc_u64_e32 v[18:19], 2, v[14:15]
	v_add_nc_u64_e32 v[20:21], 1, v[14:15]
	v_cndmask_b32_e32 v22, v24, v23, vcc_lo
	v_cmp_ne_u32_e32 vcc_lo, 0, v17
	s_delay_alu instid0(VALU_DEP_2) | instskip(NEXT) | instid1(VALU_DEP_4)
	v_cmp_ne_u32_e64 s2, 0, v22
	v_dual_cndmask_b32 v18, v20, v18 :: v_dual_cndmask_b32 v17, v21, v19
	s_delay_alu instid0(VALU_DEP_1) | instskip(NEXT) | instid1(VALU_DEP_1)
	v_dual_cndmask_b32 v14, v14, v18, s2 :: v_dual_cndmask_b32 v15, v15, v17, s2
	v_dual_mov_b32 v17, v16 :: v_dual_bitop2_b32 v14, v14, v16 bitop3:0x14
	s_delay_alu instid0(VALU_DEP_2) | instskip(NEXT) | instid1(VALU_DEP_1)
	v_xor_b32_e32 v15, v15, v16
	v_sub_nc_u64_e32 v[16:17], v[14:15], v[16:17]
.LBB9_23:
	s_and_not1_saveexec_b32 s2, s3
	s_cbranch_execz .LBB9_25
; %bb.24:
	v_cvt_f32_u32_e32 v14, s40
	s_sub_co_i32 s3, 0, s40
	s_delay_alu instid0(VALU_DEP_1) | instskip(SKIP_1) | instid1(TRANS32_DEP_1)
	v_rcp_iflag_f32_e32 v14, v14
	v_nop
	v_mul_f32_e32 v14, 0x4f7ffffe, v14
	s_delay_alu instid0(VALU_DEP_1) | instskip(NEXT) | instid1(VALU_DEP_1)
	v_cvt_u32_f32_e32 v14, v14
	v_mul_lo_u32 v15, s3, v14
	s_delay_alu instid0(VALU_DEP_1) | instskip(NEXT) | instid1(VALU_DEP_1)
	v_mul_hi_u32 v15, v14, v15
	v_add_nc_u32_e32 v14, v14, v15
	s_delay_alu instid0(VALU_DEP_1) | instskip(NEXT) | instid1(VALU_DEP_1)
	v_mul_hi_u32 v14, v8, v14
	v_mul_lo_u32 v15, v14, s40
	s_delay_alu instid0(VALU_DEP_1) | instskip(NEXT) | instid1(VALU_DEP_1)
	v_dual_add_nc_u32 v16, 1, v14 :: v_dual_sub_nc_u32 v15, v8, v15
	v_subrev_nc_u32_e32 v17, s40, v15
	v_cmp_le_u32_e32 vcc_lo, s40, v15
	s_delay_alu instid0(VALU_DEP_2) | instskip(NEXT) | instid1(VALU_DEP_4)
	v_dual_cndmask_b32 v15, v15, v17, vcc_lo :: v_dual_mov_b32 v17, 0
	v_cndmask_b32_e32 v14, v14, v16, vcc_lo
	s_delay_alu instid0(VALU_DEP_2) | instskip(NEXT) | instid1(VALU_DEP_2)
	v_cmp_le_u32_e32 vcc_lo, s40, v15
	v_add_nc_u32_e32 v16, 1, v14
	s_delay_alu instid0(VALU_DEP_1)
	v_cndmask_b32_e32 v16, v14, v16, vcc_lo
.LBB9_25:
	s_or_b32 exec_lo, exec_lo, s2
	v_mul_u64_e32 v[14:15], s[10:11], v[10:11]
	s_load_b64 s[0:1], s[0:1], 0x80
	s_delay_alu instid0(VALU_DEP_1) | instskip(NEXT) | instid1(VALU_DEP_1)
	v_sub_nc_u64_e32 v[6:7], v[6:7], v[14:15]
	v_dual_mov_b32 v15, 0 :: v_dual_ashrrev_i32 v14, 31, v7
	s_delay_alu instid0(VALU_DEP_1) | instskip(NEXT) | instid1(VALU_DEP_1)
	v_lshrrev_b32_e32 v14, 27, v14
	v_add_nc_u64_e32 v[6:7], v[6:7], v[14:15]
	s_delay_alu instid0(VALU_DEP_1) | instskip(NEXT) | instid1(VALU_DEP_1)
	v_ashrrev_i64 v[6:7], 5, v[6:7]
	v_mad_nc_u64_u32 v[14:15], v6, s16, s[4:5]
	s_delay_alu instid0(VALU_DEP_1) | instskip(NEXT) | instid1(VALU_DEP_1)
	v_mad_u32 v7, v7, s16, v15
	v_mad_u32 v15, v6, s17, v7
	s_delay_alu instid0(VALU_DEP_1) | instskip(NEXT) | instid1(VALU_DEP_1)
	v_mad_nc_u64_u32 v[6:7], v10, s18, v[14:15]
	v_mad_u32 v7, v11, s18, v7
	s_delay_alu instid0(VALU_DEP_1) | instskip(NEXT) | instid1(VALU_DEP_1)
	v_mad_u32 v7, v10, s19, v7
	v_mad_nc_u64_u32 v[6:7], v2, s36, v[6:7]
	s_delay_alu instid0(VALU_DEP_1) | instskip(NEXT) | instid1(VALU_DEP_1)
	v_mad_u32 v3, v3, s36, v7
	v_mad_u32 v7, v2, s37, v3
	s_delay_alu instid0(VALU_DEP_1) | instskip(NEXT) | instid1(VALU_DEP_1)
	v_mad_nc_u64_u32 v[2:3], v0, s38, v[6:7]
	v_mad_u32 v1, v1, s38, v3
	s_delay_alu instid0(VALU_DEP_1)
	v_mad_u32 v3, v0, s39, v1
	v_mul_u64_e32 v[0:1], s[40:41], v[16:17]
	s_clause 0x2
	global_load_b32 v10, v[2:3], off offset:4
	global_load_u8 v11, v[2:3], off offset:8
	global_load_b32 v14, v[2:3], off
	v_sub_nc_u64_e32 v[0:1], v[8:9], v[0:1]
	s_delay_alu instid0(VALU_DEP_1) | instskip(NEXT) | instid1(VALU_DEP_1)
	v_mad_nc_u64_u32 v[6:7], v0, s46, s[6:7]
	v_mad_u32 v1, v1, s46, v7
	s_delay_alu instid0(VALU_DEP_1) | instskip(NEXT) | instid1(VALU_DEP_1)
	v_mad_u32 v7, v0, s47, v1
	v_mad_nc_u64_u32 v[0:1], v16, s48, v[6:7]
	s_delay_alu instid0(VALU_DEP_1) | instskip(NEXT) | instid1(VALU_DEP_1)
	v_mad_u32 v1, v17, s48, v1
	v_mad_u32 v1, v16, s49, v1
	s_delay_alu instid0(VALU_DEP_1) | instskip(NEXT) | instid1(VALU_DEP_1)
	v_mad_nc_u64_u32 v[0:1], v4, s50, v[0:1]
	v_mad_u32 v1, v5, s50, v1
	s_delay_alu instid0(VALU_DEP_1) | instskip(SKIP_1) | instid1(VALU_DEP_1)
	v_mad_u32 v1, v4, s51, v1
	s_wait_kmcnt 0x0
	v_mad_nc_u64_u32 v[0:1], v12, s0, v[0:1]
	s_delay_alu instid0(VALU_DEP_1) | instskip(NEXT) | instid1(VALU_DEP_1)
	v_mad_u32 v1, v13, s0, v1
	v_mad_u32 v1, v12, s1, v1
	s_wait_loadcnt 0x2
	v_dual_lshrrev_b32 v4, 12, v10 :: v_dual_lshlrev_b32 v5, 4, v10
	s_wait_loadcnt 0x1
	v_and_b32_e32 v6, 15, v11
	v_lshrrev_b16 v7, 4, v11
	s_delay_alu instid0(VALU_DEP_2) | instskip(NEXT) | instid1(VALU_DEP_2)
	v_and_or_b32 v5, v5, 16, v6
	v_and_or_b32 v4, v4, 16, v7
	s_delay_alu instid0(VALU_DEP_2) | instskip(NEXT) | instid1(VALU_DEP_2)
	v_cvt_f32_ubyte0_e32 v5, v5
	v_cvt_f32_ubyte0_e32 v4, v4
	s_wait_loadcnt 0x0
	s_delay_alu instid0(VALU_DEP_2) | instskip(NEXT) | instid1(VALU_DEP_2)
	v_fma_mix_f32 v5, v14, v5, v14 op_sel:[0,0,1] op_sel_hi:[1,0,1]
	v_fma_mix_f32 v4, v14, v4, v14 op_sel:[0,0,1] op_sel_hi:[1,0,1]
	s_clause 0x1
	global_store_b32 v[0:1], v5, off
	global_store_b32 v[0:1], v4, off offset:64
	s_clause 0x2
	global_load_b32 v4, v[2:3], off offset:4
	global_load_u8 v5, v[2:3], off offset:9
	global_load_b32 v6, v[2:3], off
	s_wait_loadcnt 0x2
	v_dual_lshrrev_b32 v7, 13, v4 :: v_dual_lshlrev_b32 v4, 3, v4
	s_wait_loadcnt 0x1
	v_and_b32_e32 v8, 15, v5
	v_lshrrev_b16 v5, 4, v5
	s_delay_alu instid0(VALU_DEP_2) | instskip(NEXT) | instid1(VALU_DEP_2)
	v_and_or_b32 v4, v4, 16, v8
	v_and_or_b32 v5, v7, 16, v5
	s_delay_alu instid0(VALU_DEP_2) | instskip(NEXT) | instid1(VALU_DEP_2)
	v_cvt_f32_ubyte0_e32 v4, v4
	v_cvt_f32_ubyte0_e32 v5, v5
	s_wait_loadcnt 0x0
	s_delay_alu instid0(VALU_DEP_2) | instskip(NEXT) | instid1(VALU_DEP_2)
	v_fma_mix_f32 v4, v6, v4, v6 op_sel:[0,0,1] op_sel_hi:[1,0,1]
	v_fma_mix_f32 v5, v6, v5, v6 op_sel:[0,0,1] op_sel_hi:[1,0,1]
	s_clause 0x1
	global_store_b32 v[0:1], v4, off offset:4
	global_store_b32 v[0:1], v5, off offset:68
	s_clause 0x2
	global_load_b32 v4, v[2:3], off offset:4
	global_load_u8 v5, v[2:3], off offset:10
	global_load_b32 v6, v[2:3], off
	s_wait_loadcnt 0x2
	v_dual_lshrrev_b32 v7, 14, v4 :: v_dual_lshlrev_b32 v4, 2, v4
	s_wait_loadcnt 0x1
	v_and_b32_e32 v8, 15, v5
	v_lshrrev_b16 v5, 4, v5
	s_delay_alu instid0(VALU_DEP_2) | instskip(NEXT) | instid1(VALU_DEP_2)
	v_and_or_b32 v4, v4, 16, v8
	v_and_or_b32 v5, v7, 16, v5
	s_delay_alu instid0(VALU_DEP_2) | instskip(NEXT) | instid1(VALU_DEP_2)
	v_cvt_f32_ubyte0_e32 v4, v4
	v_cvt_f32_ubyte0_e32 v5, v5
	s_wait_loadcnt 0x0
	s_delay_alu instid0(VALU_DEP_2) | instskip(NEXT) | instid1(VALU_DEP_2)
	v_fma_mix_f32 v4, v6, v4, v6 op_sel:[0,0,1] op_sel_hi:[1,0,1]
	v_fma_mix_f32 v5, v6, v5, v6 op_sel:[0,0,1] op_sel_hi:[1,0,1]
	s_clause 0x1
	global_store_b32 v[0:1], v4, off offset:8
	;; [unrolled: 22-line block ×3, first 2 shown]
	global_store_b32 v[0:1], v5, off offset:76
	s_clause 0x2
	global_load_b32 v4, v[2:3], off offset:4
	global_load_u8 v5, v[2:3], off offset:12
	global_load_b32 v6, v[2:3], off
	s_wait_loadcnt 0x1
	v_dual_lshrrev_b32 v7, 16, v4 :: v_dual_bitop2_b32 v8, 15, v5 bitop3:0x40
	v_lshrrev_b16 v5, 4, v5
	s_delay_alu instid0(VALU_DEP_2) | instskip(NEXT) | instid1(VALU_DEP_2)
	v_bitop3_b16 v4, v4, v8, 16 bitop3:0xec
	v_bitop3_b16 v5, v7, v5, 16 bitop3:0xec
	s_delay_alu instid0(VALU_DEP_2) | instskip(NEXT) | instid1(VALU_DEP_2)
	v_cvt_f32_ubyte0_e32 v4, v4
	v_cvt_f32_ubyte0_e32 v5, v5
	s_wait_loadcnt 0x0
	s_delay_alu instid0(VALU_DEP_2) | instskip(NEXT) | instid1(VALU_DEP_2)
	v_fma_mix_f32 v4, v6, v4, v6 op_sel:[0,0,1] op_sel_hi:[1,0,1]
	v_fma_mix_f32 v5, v6, v5, v6 op_sel:[0,0,1] op_sel_hi:[1,0,1]
	s_clause 0x1
	global_store_b32 v[0:1], v4, off offset:16
	global_store_b32 v[0:1], v5, off offset:80
	s_clause 0x2
	global_load_b32 v4, v[2:3], off offset:4
	global_load_u8 v5, v[2:3], off offset:13
	global_load_b32 v6, v[2:3], off
	s_wait_loadcnt 0x2
	v_lshrrev_b16 v7, 1, v4
	s_wait_loadcnt 0x1
	v_dual_lshrrev_b32 v4, 17, v4 :: v_dual_bitop2_b32 v8, 15, v5 bitop3:0x40
	v_lshrrev_b16 v5, 4, v5
	s_delay_alu instid0(VALU_DEP_2) | instskip(NEXT) | instid1(VALU_DEP_2)
	v_bitop3_b16 v7, v7, v8, 16 bitop3:0xec
	v_bitop3_b16 v4, v4, v5, 16 bitop3:0xec
	s_delay_alu instid0(VALU_DEP_2) | instskip(NEXT) | instid1(VALU_DEP_2)
	v_cvt_f32_ubyte0_e32 v5, v7
	v_cvt_f32_ubyte0_e32 v4, v4
	s_wait_loadcnt 0x0
	s_delay_alu instid0(VALU_DEP_2) | instskip(NEXT) | instid1(VALU_DEP_2)
	v_fma_mix_f32 v5, v6, v5, v6 op_sel:[0,0,1] op_sel_hi:[1,0,1]
	v_fma_mix_f32 v4, v6, v4, v6 op_sel:[0,0,1] op_sel_hi:[1,0,1]
	s_clause 0x1
	global_store_b32 v[0:1], v5, off offset:20
	global_store_b32 v[0:1], v4, off offset:84
	s_clause 0x2
	global_load_b32 v4, v[2:3], off offset:4
	global_load_u8 v5, v[2:3], off offset:14
	global_load_b32 v6, v[2:3], off
	s_wait_loadcnt 0x2
	v_lshrrev_b16 v7, 2, v4
	;; [unrolled: 22-line block ×10, first 2 shown]
	s_wait_loadcnt 0x1
	v_dual_lshrrev_b32 v4, 26, v4 :: v_dual_bitop2_b32 v8, 15, v5 bitop3:0x40
	v_lshrrev_b16 v5, 4, v5
	s_delay_alu instid0(VALU_DEP_2) | instskip(NEXT) | instid1(VALU_DEP_2)
	v_bitop3_b16 v7, v7, v8, 16 bitop3:0xec
	v_bitop3_b16 v4, v4, v5, 16 bitop3:0xec
	s_delay_alu instid0(VALU_DEP_2) | instskip(NEXT) | instid1(VALU_DEP_2)
	v_cvt_f32_ubyte0_e32 v5, v7
	v_cvt_f32_ubyte0_e32 v4, v4
	s_wait_loadcnt 0x0
	s_delay_alu instid0(VALU_DEP_2) | instskip(NEXT) | instid1(VALU_DEP_2)
	v_fma_mix_f32 v5, v6, v5, v6 op_sel:[0,0,1] op_sel_hi:[1,0,1]
	v_fma_mix_f32 v4, v6, v4, v6 op_sel:[0,0,1] op_sel_hi:[1,0,1]
	s_clause 0x1
	global_store_b32 v[0:1], v5, off offset:56
	global_store_b32 v[0:1], v4, off offset:120
	s_clause 0x2
	global_load_b32 v4, v[2:3], off offset:4
	global_load_u8 v5, v[2:3], off offset:23
	global_load_b32 v6, v[2:3], off
	s_wait_loadcnt 0x2
	s_wait_xcnt 0x0
	v_lshrrev_b16 v2, 11, v4
	s_wait_loadcnt 0x1
	v_dual_lshrrev_b32 v3, 27, v4 :: v_dual_bitop2_b32 v4, 15, v5 bitop3:0x40
	v_lshrrev_b16 v5, 4, v5
	s_delay_alu instid0(VALU_DEP_2) | instskip(NEXT) | instid1(VALU_DEP_2)
	v_bitop3_b16 v2, v2, v4, 16 bitop3:0xec
	v_bitop3_b16 v3, v3, v5, 16 bitop3:0xec
	s_delay_alu instid0(VALU_DEP_2) | instskip(NEXT) | instid1(VALU_DEP_2)
	v_cvt_f32_ubyte0_e32 v2, v2
	v_cvt_f32_ubyte0_e32 v3, v3
	s_wait_loadcnt 0x0
	s_delay_alu instid0(VALU_DEP_2) | instskip(NEXT) | instid1(VALU_DEP_2)
	v_fma_mix_f32 v2, v6, v2, v6 op_sel:[0,0,1] op_sel_hi:[1,0,1]
	v_fma_mix_f32 v3, v6, v3, v6 op_sel:[0,0,1] op_sel_hi:[1,0,1]
	s_clause 0x1
	global_store_b32 v[0:1], v2, off offset:60
	global_store_b32 v[0:1], v3, off offset:124
.LBB9_26:
	s_endpgm
	.section	.rodata,"a",@progbits
	.p2align	6, 0x0
	.amdhsa_kernel _ZL9cpy_q_f32IXadL_ZL14cpy_blck_q_f32IXadL_ZL15dequantize_q5_1PKvliR15HIP_vector_typeIfLj2EEEELi32EEvPKcPcEELi32EEvS7_S8_lllllllllllllll
		.amdhsa_group_segment_fixed_size 0
		.amdhsa_private_segment_fixed_size 0
		.amdhsa_kernarg_size 392
		.amdhsa_user_sgpr_count 2
		.amdhsa_user_sgpr_dispatch_ptr 0
		.amdhsa_user_sgpr_queue_ptr 0
		.amdhsa_user_sgpr_kernarg_segment_ptr 1
		.amdhsa_user_sgpr_dispatch_id 0
		.amdhsa_user_sgpr_kernarg_preload_length 0
		.amdhsa_user_sgpr_kernarg_preload_offset 0
		.amdhsa_user_sgpr_private_segment_size 0
		.amdhsa_wavefront_size32 1
		.amdhsa_uses_dynamic_stack 0
		.amdhsa_enable_private_segment 0
		.amdhsa_system_sgpr_workgroup_id_x 1
		.amdhsa_system_sgpr_workgroup_id_y 0
		.amdhsa_system_sgpr_workgroup_id_z 0
		.amdhsa_system_sgpr_workgroup_info 0
		.amdhsa_system_vgpr_workitem_id 0
		.amdhsa_next_free_vgpr 30
		.amdhsa_next_free_sgpr 52
		.amdhsa_named_barrier_count 0
		.amdhsa_reserve_vcc 1
		.amdhsa_float_round_mode_32 0
		.amdhsa_float_round_mode_16_64 0
		.amdhsa_float_denorm_mode_32 3
		.amdhsa_float_denorm_mode_16_64 3
		.amdhsa_fp16_overflow 0
		.amdhsa_memory_ordered 1
		.amdhsa_forward_progress 1
		.amdhsa_inst_pref_size 59
		.amdhsa_round_robin_scheduling 0
		.amdhsa_exception_fp_ieee_invalid_op 0
		.amdhsa_exception_fp_denorm_src 0
		.amdhsa_exception_fp_ieee_div_zero 0
		.amdhsa_exception_fp_ieee_overflow 0
		.amdhsa_exception_fp_ieee_underflow 0
		.amdhsa_exception_fp_ieee_inexact 0
		.amdhsa_exception_int_div_zero 0
	.end_amdhsa_kernel
	.section	.text._ZL9cpy_q_f32IXadL_ZL14cpy_blck_q_f32IXadL_ZL15dequantize_q5_1PKvliR15HIP_vector_typeIfLj2EEEELi32EEvPKcPcEELi32EEvS7_S8_lllllllllllllll,"axG",@progbits,_ZL9cpy_q_f32IXadL_ZL14cpy_blck_q_f32IXadL_ZL15dequantize_q5_1PKvliR15HIP_vector_typeIfLj2EEEELi32EEvPKcPcEELi32EEvS7_S8_lllllllllllllll,comdat
.Lfunc_end9:
	.size	_ZL9cpy_q_f32IXadL_ZL14cpy_blck_q_f32IXadL_ZL15dequantize_q5_1PKvliR15HIP_vector_typeIfLj2EEEELi32EEvPKcPcEELi32EEvS7_S8_lllllllllllllll, .Lfunc_end9-_ZL9cpy_q_f32IXadL_ZL14cpy_blck_q_f32IXadL_ZL15dequantize_q5_1PKvliR15HIP_vector_typeIfLj2EEEELi32EEvPKcPcEELi32EEvS7_S8_lllllllllllllll
                                        ; -- End function
	.set _ZL9cpy_q_f32IXadL_ZL14cpy_blck_q_f32IXadL_ZL15dequantize_q5_1PKvliR15HIP_vector_typeIfLj2EEEELi32EEvPKcPcEELi32EEvS7_S8_lllllllllllllll.num_vgpr, 30
	.set _ZL9cpy_q_f32IXadL_ZL14cpy_blck_q_f32IXadL_ZL15dequantize_q5_1PKvliR15HIP_vector_typeIfLj2EEEELi32EEvPKcPcEELi32EEvS7_S8_lllllllllllllll.num_agpr, 0
	.set _ZL9cpy_q_f32IXadL_ZL14cpy_blck_q_f32IXadL_ZL15dequantize_q5_1PKvliR15HIP_vector_typeIfLj2EEEELi32EEvPKcPcEELi32EEvS7_S8_lllllllllllllll.numbered_sgpr, 52
	.set _ZL9cpy_q_f32IXadL_ZL14cpy_blck_q_f32IXadL_ZL15dequantize_q5_1PKvliR15HIP_vector_typeIfLj2EEEELi32EEvPKcPcEELi32EEvS7_S8_lllllllllllllll.num_named_barrier, 0
	.set _ZL9cpy_q_f32IXadL_ZL14cpy_blck_q_f32IXadL_ZL15dequantize_q5_1PKvliR15HIP_vector_typeIfLj2EEEELi32EEvPKcPcEELi32EEvS7_S8_lllllllllllllll.private_seg_size, 0
	.set _ZL9cpy_q_f32IXadL_ZL14cpy_blck_q_f32IXadL_ZL15dequantize_q5_1PKvliR15HIP_vector_typeIfLj2EEEELi32EEvPKcPcEELi32EEvS7_S8_lllllllllllllll.uses_vcc, 1
	.set _ZL9cpy_q_f32IXadL_ZL14cpy_blck_q_f32IXadL_ZL15dequantize_q5_1PKvliR15HIP_vector_typeIfLj2EEEELi32EEvPKcPcEELi32EEvS7_S8_lllllllllllllll.uses_flat_scratch, 0
	.set _ZL9cpy_q_f32IXadL_ZL14cpy_blck_q_f32IXadL_ZL15dequantize_q5_1PKvliR15HIP_vector_typeIfLj2EEEELi32EEvPKcPcEELi32EEvS7_S8_lllllllllllllll.has_dyn_sized_stack, 0
	.set _ZL9cpy_q_f32IXadL_ZL14cpy_blck_q_f32IXadL_ZL15dequantize_q5_1PKvliR15HIP_vector_typeIfLj2EEEELi32EEvPKcPcEELi32EEvS7_S8_lllllllllllllll.has_recursion, 0
	.set _ZL9cpy_q_f32IXadL_ZL14cpy_blck_q_f32IXadL_ZL15dequantize_q5_1PKvliR15HIP_vector_typeIfLj2EEEELi32EEvPKcPcEELi32EEvS7_S8_lllllllllllllll.has_indirect_call, 0
	.section	.AMDGPU.csdata,"",@progbits
; Kernel info:
; codeLenInByte = 7552
; TotalNumSgprs: 54
; NumVgprs: 30
; ScratchSize: 0
; MemoryBound: 0
; FloatMode: 240
; IeeeMode: 1
; LDSByteSize: 0 bytes/workgroup (compile time only)
; SGPRBlocks: 0
; VGPRBlocks: 1
; NumSGPRsForWavesPerEU: 54
; NumVGPRsForWavesPerEU: 30
; NamedBarCnt: 0
; Occupancy: 16
; WaveLimiterHint : 0
; COMPUTE_PGM_RSRC2:SCRATCH_EN: 0
; COMPUTE_PGM_RSRC2:USER_SGPR: 2
; COMPUTE_PGM_RSRC2:TRAP_HANDLER: 0
; COMPUTE_PGM_RSRC2:TGID_X_EN: 1
; COMPUTE_PGM_RSRC2:TGID_Y_EN: 0
; COMPUTE_PGM_RSRC2:TGID_Z_EN: 0
; COMPUTE_PGM_RSRC2:TIDIG_COMP_CNT: 0
	.section	.text._ZL9cpy_f32_qIXadL_ZL19cpy_blck_f32_iq4_nlPKcPcEELi32EEvS1_S2_lllllllllllllll,"axG",@progbits,_ZL9cpy_f32_qIXadL_ZL19cpy_blck_f32_iq4_nlPKcPcEELi32EEvS1_S2_lllllllllllllll,comdat
	.globl	_ZL9cpy_f32_qIXadL_ZL19cpy_blck_f32_iq4_nlPKcPcEELi32EEvS1_S2_lllllllllllllll ; -- Begin function _ZL9cpy_f32_qIXadL_ZL19cpy_blck_f32_iq4_nlPKcPcEELi32EEvS1_S2_lllllllllllllll
	.p2align	8
	.type	_ZL9cpy_f32_qIXadL_ZL19cpy_blck_f32_iq4_nlPKcPcEELi32EEvS1_S2_lllllllllllllll,@function
_ZL9cpy_f32_qIXadL_ZL19cpy_blck_f32_iq4_nlPKcPcEELi32EEvS1_S2_lllllllllllllll: ; @_ZL9cpy_f32_qIXadL_ZL19cpy_blck_f32_iq4_nlPKcPcEELi32EEvS1_S2_lllllllllllllll
; %bb.0:
	s_load_b32 s2, s[0:1], 0x94
	s_bfe_u32 s3, ttmp6, 0x4000c
	v_mov_b32_e32 v2, 0
	s_add_co_i32 s3, s3, 1
	s_and_b32 s4, ttmp6, 15
	s_mul_i32 s3, ttmp9, s3
	s_getreg_b32 s5, hwreg(HW_REG_IB_STS2, 6, 4)
	v_mov_b32_e32 v1, v2
	s_add_co_i32 s3, s4, s3
	s_wait_kmcnt 0x0
	s_and_b32 s2, s2, 0xffff
	s_cmp_eq_u32 s5, 0
	s_load_b512 s[4:19], s[0:1], 0x0
	s_cselect_b32 s3, ttmp9, s3
	s_delay_alu instid0(SALU_CYCLE_1) | instskip(SKIP_1) | instid1(VALU_DEP_1)
	v_mad_nc_u64_u32 v[0:1], s2, s3, v[0:1]
	s_mov_b32 s2, exec_lo
	v_lshlrev_b64_e32 v[4:5], 5, v[0:1]
	s_wait_kmcnt 0x0
	s_delay_alu instid0(VALU_DEP_1)
	v_cmpx_gt_i64_e64 s[8:9], v[4:5]
	s_cbranch_execz .LBB10_40
; %bb.1:
	s_mul_u64 s[8:9], s[12:13], s[10:11]
                                        ; implicit-def: $vgpr0_vgpr1
	s_mov_b32 s2, exec_lo
	s_mul_u64 s[12:13], s[8:9], s[14:15]
	s_delay_alu instid0(SALU_CYCLE_1) | instskip(NEXT) | instid1(VALU_DEP_1)
	v_dual_ashrrev_i32 v8, 31, v5 :: v_dual_bitop2_b32 v3, s13, v5 bitop3:0x54
	v_cmpx_ne_u64_e32 0, v[2:3]
	s_xor_b32 s3, exec_lo, s2
	s_cbranch_execz .LBB10_3
; %bb.2:
	s_ashr_i32 s14, s13, 31
	s_mov_b32 s29, 0
	s_mov_b32 s15, s14
	v_dual_mov_b32 v9, v8 :: v_dual_mov_b32 v3, 0
	s_add_nc_u64 s[20:21], s[12:13], s[14:15]
	s_delay_alu instid0(SALU_CYCLE_1) | instskip(NEXT) | instid1(VALU_DEP_1)
	s_xor_b64 s[20:21], s[20:21], s[14:15]
	v_add_nc_u64_e32 v[0:1], v[4:5], v[8:9]
	s_cvt_f32_u32 s2, s20
	s_cvt_f32_u32 s15, s21
	s_sub_nc_u64 s[24:25], 0, s[20:21]
	v_dual_mov_b32 v7, v3 :: v_dual_mov_b32 v15, v3
	s_delay_alu instid0(SALU_CYCLE_1) | instskip(NEXT) | instid1(VALU_DEP_2)
	s_fmamk_f32 s2, s15, 0x4f800000, s2
	v_xor_b32_e32 v2, v0, v8
	v_xor_b32_e32 v6, v1, v8
	s_delay_alu instid0(SALU_CYCLE_1) | instskip(NEXT) | instid1(TRANS32_DEP_1)
	v_s_rcp_f32 s2, s2
	s_mul_f32 s2, s2, 0x5f7ffffc
	s_delay_alu instid0(SALU_CYCLE_3) | instskip(NEXT) | instid1(SALU_CYCLE_3)
	s_mul_f32 s15, s2, 0x2f800000
	s_trunc_f32 s15, s15
	s_delay_alu instid0(SALU_CYCLE_3) | instskip(SKIP_1) | instid1(SALU_CYCLE_2)
	s_fmamk_f32 s2, s15, 0xcf800000, s2
	s_cvt_u32_f32 s23, s15
	s_cvt_u32_f32 s22, s2
	s_delay_alu instid0(SALU_CYCLE_3) | instskip(NEXT) | instid1(SALU_CYCLE_1)
	s_mul_u64 s[26:27], s[24:25], s[22:23]
	s_mul_hi_u32 s31, s22, s27
	s_mul_i32 s30, s22, s27
	s_mul_hi_u32 s28, s22, s26
	s_mul_i32 s15, s23, s26
	s_add_nc_u64 s[30:31], s[28:29], s[30:31]
	s_mul_hi_u32 s2, s23, s26
	s_mul_hi_u32 s33, s23, s27
	s_add_co_u32 s15, s30, s15
	s_add_co_ci_u32 s28, s31, s2
	s_mul_i32 s26, s23, s27
	s_add_co_ci_u32 s27, s33, 0
	s_delay_alu instid0(SALU_CYCLE_1) | instskip(NEXT) | instid1(SALU_CYCLE_1)
	s_add_nc_u64 s[26:27], s[28:29], s[26:27]
	s_add_co_u32 s22, s22, s26
	s_cselect_b32 s2, -1, 0
	s_delay_alu instid0(SALU_CYCLE_1) | instskip(SKIP_1) | instid1(SALU_CYCLE_1)
	s_cmp_lg_u32 s2, 0
	s_add_co_ci_u32 s23, s23, s27
	s_mul_u64 s[24:25], s[24:25], s[22:23]
	s_delay_alu instid0(SALU_CYCLE_1)
	s_mul_hi_u32 s27, s22, s25
	s_mul_i32 s26, s22, s25
	s_mul_hi_u32 s28, s22, s24
	s_mul_i32 s15, s23, s24
	s_add_nc_u64 s[26:27], s[28:29], s[26:27]
	s_mul_hi_u32 s2, s23, s24
	s_mul_hi_u32 s30, s23, s25
	s_add_co_u32 s15, s26, s15
	s_add_co_ci_u32 s28, s27, s2
	s_mul_i32 s24, s23, s25
	s_add_co_ci_u32 s25, s30, 0
	s_delay_alu instid0(SALU_CYCLE_1) | instskip(NEXT) | instid1(SALU_CYCLE_1)
	s_add_nc_u64 s[24:25], s[28:29], s[24:25]
	s_add_co_u32 s2, s22, s24
	s_cselect_b32 s15, -1, 0
	v_nop
	v_mul_hi_u32 v14, v2, s2
	s_cmp_lg_u32 s15, 0
	s_add_co_ci_u32 s28, s23, s25
	s_mov_b64 s[22:23], 0xffffffff
	v_mul_u64_e32 v[10:11], s[28:29], v[2:3]
	s_and_b64 s[22:23], s[2:3], s[22:23]
	v_mul_u64_e32 v[12:13], s[28:29], v[6:7]
	v_mul_u64_e32 v[0:1], s[22:23], v[6:7]
	s_delay_alu instid0(VALU_DEP_3) | instskip(NEXT) | instid1(VALU_DEP_1)
	v_add_nc_u64_e32 v[10:11], v[14:15], v[10:11]
	v_add_co_u32 v0, vcc_lo, v10, v0
	s_delay_alu instid0(VALU_DEP_2) | instskip(SKIP_1) | instid1(VALU_DEP_1)
	v_add_co_ci_u32_e32 v14, vcc_lo, v11, v1, vcc_lo
	v_add_co_ci_u32_e32 v13, vcc_lo, 0, v13, vcc_lo
	v_add_nc_u64_e32 v[0:1], v[14:15], v[12:13]
	s_delay_alu instid0(VALU_DEP_1) | instskip(NEXT) | instid1(VALU_DEP_1)
	v_mul_u64_e32 v[10:11], s[20:21], v[0:1]
	v_sub_nc_u32_e32 v3, v6, v11
	s_delay_alu instid0(VALU_DEP_2) | instskip(NEXT) | instid1(VALU_DEP_1)
	v_sub_co_u32 v2, vcc_lo, v2, v10
	v_sub_co_ci_u32_e64 v9, null, v6, v11, vcc_lo
	s_delay_alu instid0(VALU_DEP_3) | instskip(NEXT) | instid1(VALU_DEP_3)
	v_subrev_co_ci_u32_e64 v3, null, s21, v3, vcc_lo
	v_sub_co_u32 v7, s2, v2, s20
	s_delay_alu instid0(VALU_DEP_1) | instskip(NEXT) | instid1(VALU_DEP_2)
	v_subrev_co_ci_u32_e64 v3, null, 0, v3, s2
	v_cmp_le_u32_e32 vcc_lo, s20, v7
	v_cndmask_b32_e64 v6, 0, -1, vcc_lo
	s_delay_alu instid0(VALU_DEP_3)
	v_cmp_le_u32_e32 vcc_lo, s21, v3
	v_cndmask_b32_e64 v7, 0, -1, vcc_lo
	v_cmp_le_u32_e32 vcc_lo, s20, v2
	v_cndmask_b32_e64 v10, 0, -1, vcc_lo
	;; [unrolled: 2-line block ×3, first 2 shown]
	v_cmp_eq_u32_e32 vcc_lo, s21, v3
	v_add_nc_u64_e32 v[2:3], 2, v[0:1]
	v_cndmask_b32_e32 v12, v7, v6, vcc_lo
	v_cmp_eq_u32_e32 vcc_lo, s21, v9
	v_add_nc_u64_e32 v[6:7], 1, v[0:1]
	v_cndmask_b32_e32 v9, v11, v10, vcc_lo
	s_delay_alu instid0(VALU_DEP_4) | instskip(NEXT) | instid1(VALU_DEP_3)
	v_cmp_ne_u32_e32 vcc_lo, 0, v12
	v_dual_cndmask_b32 v3, v7, v3 :: v_dual_cndmask_b32 v6, v6, v2
	v_xor_b32_e32 v2, s14, v8
	s_delay_alu instid0(VALU_DEP_4) | instskip(NEXT) | instid1(VALU_DEP_1)
	v_cmp_ne_u32_e64 s2, 0, v9
	v_dual_cndmask_b32 v1, v1, v3, s2 :: v_dual_cndmask_b32 v0, v0, v6, s2
	s_delay_alu instid0(VALU_DEP_1) | instskip(NEXT) | instid1(VALU_DEP_2)
	v_dual_mov_b32 v3, v2 :: v_dual_bitop2_b32 v1, v1, v2 bitop3:0x14
	v_xor_b32_e32 v0, v0, v2
	s_delay_alu instid0(VALU_DEP_1)
	v_sub_nc_u64_e32 v[0:1], v[0:1], v[2:3]
.LBB10_3:
	s_and_not1_saveexec_b32 s2, s3
	s_cbranch_execz .LBB10_5
; %bb.4:
	v_cvt_f32_u32_e32 v0, s12
	s_sub_co_i32 s3, 0, s12
	s_delay_alu instid0(VALU_DEP_1) | instskip(SKIP_1) | instid1(TRANS32_DEP_1)
	v_rcp_iflag_f32_e32 v0, v0
	v_nop
	v_mul_f32_e32 v0, 0x4f7ffffe, v0
	s_delay_alu instid0(VALU_DEP_1) | instskip(NEXT) | instid1(VALU_DEP_1)
	v_cvt_u32_f32_e32 v0, v0
	v_mul_lo_u32 v1, s3, v0
	s_delay_alu instid0(VALU_DEP_1) | instskip(NEXT) | instid1(VALU_DEP_1)
	v_mul_hi_u32 v1, v0, v1
	v_add_nc_u32_e32 v0, v0, v1
	s_delay_alu instid0(VALU_DEP_1) | instskip(NEXT) | instid1(VALU_DEP_1)
	v_mul_hi_u32 v0, v4, v0
	v_mul_lo_u32 v1, v0, s12
	s_delay_alu instid0(VALU_DEP_1) | instskip(NEXT) | instid1(VALU_DEP_1)
	v_dual_add_nc_u32 v2, 1, v0 :: v_dual_sub_nc_u32 v1, v4, v1
	v_subrev_nc_u32_e32 v3, s12, v1
	v_cmp_le_u32_e32 vcc_lo, s12, v1
	s_delay_alu instid0(VALU_DEP_2) | instskip(NEXT) | instid1(VALU_DEP_1)
	v_dual_cndmask_b32 v1, v1, v3 :: v_dual_cndmask_b32 v0, v0, v2
	v_cmp_le_u32_e32 vcc_lo, s12, v1
	s_delay_alu instid0(VALU_DEP_2) | instskip(NEXT) | instid1(VALU_DEP_1)
	v_dual_mov_b32 v1, 0 :: v_dual_add_nc_u32 v2, 1, v0
	v_cndmask_b32_e32 v0, v0, v2, vcc_lo
.LBB10_5:
	s_or_b32 exec_lo, exec_lo, s2
	s_delay_alu instid0(VALU_DEP_1) | instskip(SKIP_2) | instid1(VALU_DEP_2)
	v_mul_u64_e32 v[2:3], s[12:13], v[0:1]
	s_mov_b32 s2, exec_lo
	v_mov_b32_e32 v10, 0
	v_sub_nc_u64_e32 v[6:7], v[4:5], v[2:3]
                                        ; implicit-def: $vgpr2_vgpr3
	s_delay_alu instid0(VALU_DEP_1) | instskip(NEXT) | instid1(VALU_DEP_1)
	v_or_b32_e32 v11, s9, v7
	v_cmpx_ne_u64_e32 0, v[10:11]
	s_xor_b32 s3, exec_lo, s2
	s_cbranch_execz .LBB10_7
; %bb.6:
	s_ashr_i32 s12, s9, 31
	s_mov_b32 s27, 0
	s_mov_b32 s13, s12
	v_dual_mov_b32 v15, v10 :: v_dual_ashrrev_i32 v2, 31, v7
	s_add_nc_u64 s[14:15], s[8:9], s[12:13]
	v_dual_mov_b32 v23, v10 :: v_dual_mov_b32 v11, v10
	s_xor_b64 s[14:15], s[14:15], s[12:13]
	s_delay_alu instid0(VALU_DEP_2) | instskip(SKIP_3) | instid1(VALU_DEP_1)
	v_mov_b32_e32 v3, v2
	s_cvt_f32_u32 s2, s14
	s_cvt_f32_u32 s13, s15
	s_sub_nc_u64 s[22:23], 0, s[14:15]
	v_add_nc_u64_e32 v[12:13], v[6:7], v[2:3]
	s_delay_alu instid0(SALU_CYCLE_1) | instskip(SKIP_1) | instid1(SALU_CYCLE_2)
	s_fmamk_f32 s2, s13, 0x4f800000, s2
	v_mov_b32_e32 v17, v10
	v_s_rcp_f32 s2, s2
	s_delay_alu instid0(VALU_DEP_2) | instskip(NEXT) | instid1(VALU_DEP_3)
	v_xor_b32_e32 v14, v12, v2
	v_xor_b32_e32 v16, v13, v2
	v_xor_b32_e32 v2, s12, v2
	s_delay_alu instid0(TRANS32_DEP_1) | instskip(NEXT) | instid1(SALU_CYCLE_3)
	s_mul_f32 s2, s2, 0x5f7ffffc
	s_mul_f32 s13, s2, 0x2f800000
	s_delay_alu instid0(SALU_CYCLE_3) | instskip(NEXT) | instid1(SALU_CYCLE_3)
	s_trunc_f32 s13, s13
	s_fmamk_f32 s2, s13, 0xcf800000, s2
	s_cvt_u32_f32 s21, s13
	s_delay_alu instid0(SALU_CYCLE_2) | instskip(NEXT) | instid1(SALU_CYCLE_3)
	s_cvt_u32_f32 s20, s2
	s_mul_u64 s[24:25], s[22:23], s[20:21]
	s_delay_alu instid0(SALU_CYCLE_1)
	s_mul_hi_u32 s29, s20, s25
	s_mul_i32 s28, s20, s25
	s_mul_hi_u32 s26, s20, s24
	s_mul_i32 s13, s21, s24
	s_add_nc_u64 s[28:29], s[26:27], s[28:29]
	s_mul_hi_u32 s2, s21, s24
	s_mul_hi_u32 s30, s21, s25
	s_add_co_u32 s13, s28, s13
	s_add_co_ci_u32 s26, s29, s2
	s_mul_i32 s24, s21, s25
	s_add_co_ci_u32 s25, s30, 0
	s_delay_alu instid0(SALU_CYCLE_1) | instskip(NEXT) | instid1(SALU_CYCLE_1)
	s_add_nc_u64 s[24:25], s[26:27], s[24:25]
	s_add_co_u32 s20, s20, s24
	s_cselect_b32 s2, -1, 0
	s_delay_alu instid0(SALU_CYCLE_1) | instskip(SKIP_1) | instid1(SALU_CYCLE_1)
	s_cmp_lg_u32 s2, 0
	s_add_co_ci_u32 s21, s21, s25
	s_mul_u64 s[22:23], s[22:23], s[20:21]
	s_delay_alu instid0(SALU_CYCLE_1)
	s_mul_hi_u32 s25, s20, s23
	s_mul_i32 s24, s20, s23
	s_mul_hi_u32 s26, s20, s22
	s_mul_i32 s13, s21, s22
	s_add_nc_u64 s[24:25], s[26:27], s[24:25]
	s_mul_hi_u32 s2, s21, s22
	s_mul_hi_u32 s28, s21, s23
	s_add_co_u32 s13, s24, s13
	s_add_co_ci_u32 s26, s25, s2
	s_mul_i32 s22, s21, s23
	s_add_co_ci_u32 s23, s28, 0
	s_delay_alu instid0(SALU_CYCLE_1) | instskip(NEXT) | instid1(SALU_CYCLE_1)
	s_add_nc_u64 s[22:23], s[26:27], s[22:23]
	s_add_co_u32 s2, s20, s22
	s_cselect_b32 s13, -1, 0
	v_mul_hi_u32 v22, v14, s2
	s_cmp_lg_u32 s13, 0
	s_add_co_ci_u32 s26, s21, s23
	s_mov_b64 s[20:21], 0xffffffff
	v_mul_u64_e32 v[18:19], s[26:27], v[14:15]
	s_and_b64 s[20:21], s[2:3], s[20:21]
	v_mul_u64_e32 v[20:21], s[26:27], v[16:17]
	v_mul_u64_e32 v[12:13], s[20:21], v[16:17]
	s_delay_alu instid0(VALU_DEP_3) | instskip(NEXT) | instid1(VALU_DEP_1)
	v_add_nc_u64_e32 v[18:19], v[22:23], v[18:19]
	v_add_co_u32 v3, vcc_lo, v18, v12
	s_delay_alu instid0(VALU_DEP_2) | instskip(SKIP_1) | instid1(VALU_DEP_1)
	v_add_co_ci_u32_e32 v10, vcc_lo, v19, v13, vcc_lo
	v_add_co_ci_u32_e32 v21, vcc_lo, 0, v21, vcc_lo
	v_add_nc_u64_e32 v[10:11], v[10:11], v[20:21]
	s_delay_alu instid0(VALU_DEP_1) | instskip(NEXT) | instid1(VALU_DEP_1)
	v_mul_u64_e32 v[12:13], s[14:15], v[10:11]
	v_sub_co_u32 v9, vcc_lo, v14, v12
	v_add_nc_u64_e32 v[14:15], 1, v[10:11]
	s_delay_alu instid0(VALU_DEP_3) | instskip(SKIP_1) | instid1(VALU_DEP_4)
	v_sub_nc_u32_e32 v3, v16, v13
	v_sub_co_ci_u32_e64 v16, null, v16, v13, vcc_lo
	v_sub_co_u32 v12, s2, v9, s14
	s_delay_alu instid0(VALU_DEP_3) | instskip(NEXT) | instid1(VALU_DEP_2)
	v_subrev_co_ci_u32_e64 v3, null, s15, v3, vcc_lo
	v_cmp_le_u32_e32 vcc_lo, s14, v12
	s_delay_alu instid0(VALU_DEP_2) | instskip(SKIP_1) | instid1(VALU_DEP_2)
	v_subrev_co_ci_u32_e64 v3, null, 0, v3, s2
	v_cndmask_b32_e64 v12, 0, -1, vcc_lo
	v_cmp_le_u32_e32 vcc_lo, s15, v3
	v_cndmask_b32_e64 v13, 0, -1, vcc_lo
	v_cmp_le_u32_e32 vcc_lo, s14, v9
	;; [unrolled: 2-line block ×3, first 2 shown]
	v_cndmask_b32_e64 v17, 0, -1, vcc_lo
	v_cmp_eq_u32_e32 vcc_lo, s15, v3
	v_cndmask_b32_e32 v3, v13, v12, vcc_lo
	v_cmp_eq_u32_e32 vcc_lo, s15, v16
	v_add_nc_u64_e32 v[12:13], 2, v[10:11]
	v_cndmask_b32_e32 v9, v17, v9, vcc_lo
	s_delay_alu instid0(VALU_DEP_4) | instskip(NEXT) | instid1(VALU_DEP_2)
	v_cmp_ne_u32_e32 vcc_lo, 0, v3
	v_cmp_ne_u32_e64 s2, 0, v9
	s_delay_alu instid0(VALU_DEP_4) | instskip(NEXT) | instid1(VALU_DEP_1)
	v_cndmask_b32_e32 v9, v14, v12, vcc_lo
	v_cndmask_b32_e64 v9, v10, v9, s2
	s_delay_alu instid0(VALU_DEP_1) | instskip(NEXT) | instid1(VALU_DEP_1)
	v_dual_cndmask_b32 v3, v15, v13, vcc_lo :: v_dual_bitop2_b32 v10, v9, v2 bitop3:0x14
	v_dual_cndmask_b32 v11, v11, v3, s2 :: v_dual_mov_b32 v3, v2
	s_delay_alu instid0(VALU_DEP_1) | instskip(NEXT) | instid1(VALU_DEP_1)
	v_xor_b32_e32 v11, v11, v2
	v_sub_nc_u64_e32 v[2:3], v[10:11], v[2:3]
.LBB10_7:
	s_and_not1_saveexec_b32 s2, s3
	s_cbranch_execz .LBB10_9
; %bb.8:
	v_cvt_f32_u32_e32 v2, s8
	s_sub_co_i32 s3, 0, s8
	s_delay_alu instid0(VALU_DEP_1) | instskip(SKIP_1) | instid1(TRANS32_DEP_1)
	v_rcp_iflag_f32_e32 v2, v2
	v_nop
	v_mul_f32_e32 v2, 0x4f7ffffe, v2
	s_delay_alu instid0(VALU_DEP_1) | instskip(NEXT) | instid1(VALU_DEP_1)
	v_cvt_u32_f32_e32 v2, v2
	v_mul_lo_u32 v3, s3, v2
	s_delay_alu instid0(VALU_DEP_1) | instskip(NEXT) | instid1(VALU_DEP_1)
	v_mul_hi_u32 v3, v2, v3
	v_add_nc_u32_e32 v2, v2, v3
	s_delay_alu instid0(VALU_DEP_1) | instskip(NEXT) | instid1(VALU_DEP_1)
	v_mul_hi_u32 v2, v6, v2
	v_mul_lo_u32 v3, v2, s8
	s_delay_alu instid0(VALU_DEP_1) | instskip(NEXT) | instid1(VALU_DEP_1)
	v_dual_add_nc_u32 v9, 1, v2 :: v_dual_sub_nc_u32 v3, v6, v3
	v_subrev_nc_u32_e32 v10, s8, v3
	v_cmp_le_u32_e32 vcc_lo, s8, v3
	s_delay_alu instid0(VALU_DEP_2) | instskip(NEXT) | instid1(VALU_DEP_1)
	v_dual_cndmask_b32 v3, v3, v10 :: v_dual_cndmask_b32 v2, v2, v9
	v_cmp_le_u32_e32 vcc_lo, s8, v3
	s_delay_alu instid0(VALU_DEP_2) | instskip(NEXT) | instid1(VALU_DEP_1)
	v_dual_add_nc_u32 v9, 1, v2 :: v_dual_mov_b32 v3, 0
	v_cndmask_b32_e32 v2, v2, v9, vcc_lo
.LBB10_9:
	s_or_b32 exec_lo, exec_lo, s2
	s_delay_alu instid0(VALU_DEP_1) | instskip(SKIP_2) | instid1(VALU_DEP_2)
	v_mul_u64_e32 v[10:11], s[8:9], v[2:3]
	s_mov_b32 s2, exec_lo
	v_mov_b32_e32 v12, 0
	v_sub_nc_u64_e32 v[6:7], v[6:7], v[10:11]
                                        ; implicit-def: $vgpr10_vgpr11
	s_delay_alu instid0(VALU_DEP_1) | instskip(NEXT) | instid1(VALU_DEP_1)
	v_or_b32_e32 v13, s11, v7
	v_cmpx_ne_u64_e32 0, v[12:13]
	s_xor_b32 s3, exec_lo, s2
	s_cbranch_execz .LBB10_11
; %bb.10:
	s_ashr_i32 s8, s11, 31
	s_mov_b32 s25, 0
	s_mov_b32 s9, s8
	v_dual_mov_b32 v17, v12 :: v_dual_ashrrev_i32 v10, 31, v7
	s_add_nc_u64 s[12:13], s[10:11], s[8:9]
	v_mov_b32_e32 v19, v12
	s_xor_b64 s[12:13], s[12:13], s[8:9]
	s_delay_alu instid0(VALU_DEP_2)
	v_mov_b32_e32 v11, v10
	s_cvt_f32_u32 s2, s12
	s_cvt_f32_u32 s9, s13
	s_sub_nc_u64 s[20:21], 0, s[12:13]
	v_mov_b32_e32 v25, v12
	v_add_nc_u64_e32 v[14:15], v[6:7], v[10:11]
	s_fmamk_f32 s2, s9, 0x4f800000, s2
	v_mov_b32_e32 v13, v12
	s_delay_alu instid0(SALU_CYCLE_2) | instskip(NEXT) | instid1(VALU_DEP_2)
	v_s_rcp_f32 s2, s2
	v_xor_b32_e32 v16, v14, v10
	s_delay_alu instid0(VALU_DEP_3) | instskip(SKIP_1) | instid1(TRANS32_DEP_1)
	v_xor_b32_e32 v18, v15, v10
	v_xor_b32_e32 v10, s8, v10
	s_mul_f32 s2, s2, 0x5f7ffffc
	s_delay_alu instid0(SALU_CYCLE_3) | instskip(NEXT) | instid1(SALU_CYCLE_3)
	s_mul_f32 s9, s2, 0x2f800000
	s_trunc_f32 s9, s9
	s_delay_alu instid0(SALU_CYCLE_3) | instskip(SKIP_1) | instid1(SALU_CYCLE_2)
	s_fmamk_f32 s2, s9, 0xcf800000, s2
	s_cvt_u32_f32 s15, s9
	s_cvt_u32_f32 s14, s2
	s_delay_alu instid0(SALU_CYCLE_3) | instskip(NEXT) | instid1(SALU_CYCLE_1)
	s_mul_u64 s[22:23], s[20:21], s[14:15]
	s_mul_hi_u32 s27, s14, s23
	s_mul_i32 s26, s14, s23
	s_mul_hi_u32 s24, s14, s22
	s_mul_i32 s9, s15, s22
	s_add_nc_u64 s[26:27], s[24:25], s[26:27]
	s_mul_hi_u32 s2, s15, s22
	s_mul_hi_u32 s28, s15, s23
	s_add_co_u32 s9, s26, s9
	s_add_co_ci_u32 s24, s27, s2
	s_mul_i32 s22, s15, s23
	s_add_co_ci_u32 s23, s28, 0
	s_delay_alu instid0(SALU_CYCLE_1) | instskip(NEXT) | instid1(SALU_CYCLE_1)
	s_add_nc_u64 s[22:23], s[24:25], s[22:23]
	s_add_co_u32 s14, s14, s22
	s_cselect_b32 s2, -1, 0
	s_delay_alu instid0(SALU_CYCLE_1) | instskip(SKIP_1) | instid1(SALU_CYCLE_1)
	s_cmp_lg_u32 s2, 0
	s_add_co_ci_u32 s15, s15, s23
	s_mul_u64 s[20:21], s[20:21], s[14:15]
	s_delay_alu instid0(SALU_CYCLE_1)
	s_mul_hi_u32 s23, s14, s21
	s_mul_i32 s22, s14, s21
	s_mul_hi_u32 s24, s14, s20
	s_mul_i32 s9, s15, s20
	s_add_nc_u64 s[22:23], s[24:25], s[22:23]
	s_mul_hi_u32 s2, s15, s20
	s_mul_hi_u32 s26, s15, s21
	s_add_co_u32 s9, s22, s9
	s_add_co_ci_u32 s24, s23, s2
	s_mul_i32 s20, s15, s21
	s_add_co_ci_u32 s21, s26, 0
	s_delay_alu instid0(SALU_CYCLE_1) | instskip(NEXT) | instid1(SALU_CYCLE_1)
	s_add_nc_u64 s[20:21], s[24:25], s[20:21]
	s_add_co_u32 s2, s14, s20
	s_cselect_b32 s9, -1, 0
	v_mul_hi_u32 v24, v16, s2
	s_cmp_lg_u32 s9, 0
	s_add_co_ci_u32 s24, s15, s21
	s_mov_b64 s[14:15], 0xffffffff
	v_mul_u64_e32 v[20:21], s[24:25], v[16:17]
	s_and_b64 s[14:15], s[2:3], s[14:15]
	v_mul_u64_e32 v[22:23], s[24:25], v[18:19]
	v_mul_u64_e32 v[14:15], s[14:15], v[18:19]
	s_delay_alu instid0(VALU_DEP_3) | instskip(NEXT) | instid1(VALU_DEP_1)
	v_add_nc_u64_e32 v[20:21], v[24:25], v[20:21]
	v_add_co_u32 v9, vcc_lo, v20, v14
	s_delay_alu instid0(VALU_DEP_2) | instskip(SKIP_1) | instid1(VALU_DEP_1)
	v_add_co_ci_u32_e32 v12, vcc_lo, v21, v15, vcc_lo
	v_add_co_ci_u32_e32 v23, vcc_lo, 0, v23, vcc_lo
	v_add_nc_u64_e32 v[12:13], v[12:13], v[22:23]
	s_delay_alu instid0(VALU_DEP_1) | instskip(NEXT) | instid1(VALU_DEP_1)
	v_mul_u64_e32 v[14:15], s[12:13], v[12:13]
	v_sub_co_u32 v11, vcc_lo, v16, v14
	v_add_nc_u64_e32 v[16:17], 1, v[12:13]
	s_delay_alu instid0(VALU_DEP_3) | instskip(SKIP_1) | instid1(VALU_DEP_4)
	v_sub_nc_u32_e32 v9, v18, v15
	v_sub_co_ci_u32_e64 v18, null, v18, v15, vcc_lo
	v_sub_co_u32 v14, s2, v11, s12
	s_delay_alu instid0(VALU_DEP_3) | instskip(NEXT) | instid1(VALU_DEP_2)
	v_subrev_co_ci_u32_e64 v9, null, s13, v9, vcc_lo
	v_cmp_le_u32_e32 vcc_lo, s12, v14
	s_delay_alu instid0(VALU_DEP_2) | instskip(SKIP_1) | instid1(VALU_DEP_2)
	v_subrev_co_ci_u32_e64 v9, null, 0, v9, s2
	v_cndmask_b32_e64 v14, 0, -1, vcc_lo
	v_cmp_le_u32_e32 vcc_lo, s13, v9
	v_cndmask_b32_e64 v15, 0, -1, vcc_lo
	v_cmp_le_u32_e32 vcc_lo, s12, v11
	;; [unrolled: 2-line block ×3, first 2 shown]
	v_cndmask_b32_e64 v19, 0, -1, vcc_lo
	v_cmp_eq_u32_e32 vcc_lo, s13, v9
	v_cndmask_b32_e32 v9, v15, v14, vcc_lo
	v_cmp_eq_u32_e32 vcc_lo, s13, v18
	v_add_nc_u64_e32 v[14:15], 2, v[12:13]
	v_cndmask_b32_e32 v11, v19, v11, vcc_lo
	s_delay_alu instid0(VALU_DEP_4) | instskip(NEXT) | instid1(VALU_DEP_2)
	v_cmp_ne_u32_e32 vcc_lo, 0, v9
	v_cmp_ne_u32_e64 s2, 0, v11
	s_delay_alu instid0(VALU_DEP_4) | instskip(NEXT) | instid1(VALU_DEP_1)
	v_dual_cndmask_b32 v9, v17, v15, vcc_lo :: v_dual_cndmask_b32 v11, v16, v14, vcc_lo
	v_dual_cndmask_b32 v12, v12, v11, s2 :: v_dual_mov_b32 v11, v10
	s_delay_alu instid0(VALU_DEP_1) | instskip(NEXT) | instid1(VALU_DEP_1)
	v_dual_cndmask_b32 v9, v13, v9, s2 :: v_dual_bitop2_b32 v12, v12, v10 bitop3:0x14
	v_xor_b32_e32 v13, v9, v10
	s_delay_alu instid0(VALU_DEP_1)
	v_sub_nc_u64_e32 v[10:11], v[12:13], v[10:11]
.LBB10_11:
	s_and_not1_saveexec_b32 s2, s3
	s_cbranch_execz .LBB10_13
; %bb.12:
	v_cvt_f32_u32_e32 v9, s10
	s_sub_co_i32 s3, 0, s10
	s_delay_alu instid0(VALU_DEP_1) | instskip(SKIP_1) | instid1(TRANS32_DEP_1)
	v_rcp_iflag_f32_e32 v9, v9
	v_nop
	v_mul_f32_e32 v9, 0x4f7ffffe, v9
	s_delay_alu instid0(VALU_DEP_1) | instskip(NEXT) | instid1(VALU_DEP_1)
	v_cvt_u32_f32_e32 v9, v9
	v_mul_lo_u32 v10, s3, v9
	s_delay_alu instid0(VALU_DEP_1) | instskip(NEXT) | instid1(VALU_DEP_1)
	v_mul_hi_u32 v10, v9, v10
	v_add_nc_u32_e32 v9, v9, v10
	s_delay_alu instid0(VALU_DEP_1) | instskip(NEXT) | instid1(VALU_DEP_1)
	v_mul_hi_u32 v9, v6, v9
	v_mul_lo_u32 v10, v9, s10
	s_delay_alu instid0(VALU_DEP_1) | instskip(NEXT) | instid1(VALU_DEP_1)
	v_dual_add_nc_u32 v11, 1, v9 :: v_dual_sub_nc_u32 v10, v6, v10
	v_subrev_nc_u32_e32 v12, s10, v10
	v_cmp_le_u32_e32 vcc_lo, s10, v10
	s_delay_alu instid0(VALU_DEP_2) | instskip(NEXT) | instid1(VALU_DEP_1)
	v_dual_cndmask_b32 v10, v10, v12 :: v_dual_cndmask_b32 v9, v9, v11
	v_cmp_le_u32_e32 vcc_lo, s10, v10
	s_delay_alu instid0(VALU_DEP_2) | instskip(NEXT) | instid1(VALU_DEP_1)
	v_add_nc_u32_e32 v11, 1, v9
	v_dual_cndmask_b32 v10, v9, v11 :: v_dual_mov_b32 v11, 0
.LBB10_13:
	s_or_b32 exec_lo, exec_lo, s2
	s_load_b512 s[36:51], s[0:1], 0x40
                                        ; implicit-def: $vgpr12_vgpr13
	s_mov_b32 s2, exec_lo
	v_mov_b32_e32 v14, 0
	s_wait_kmcnt 0x0
	s_mul_u64 s[8:9], s[42:43], s[40:41]
	s_delay_alu instid0(SALU_CYCLE_1) | instskip(NEXT) | instid1(SALU_CYCLE_1)
	s_mul_u64 s[12:13], s[8:9], s[44:45]
	v_or_b32_e32 v15, s13, v5
	s_delay_alu instid0(VALU_DEP_1)
	v_cmpx_ne_u64_e32 0, v[14:15]
	s_xor_b32 s3, exec_lo, s2
	s_cbranch_execz .LBB10_15
; %bb.14:
	s_ashr_i32 s14, s13, 31
	s_mov_b32 s29, 0
	s_mov_b32 s15, s14
	v_dual_mov_b32 v9, v8 :: v_dual_mov_b32 v17, v14
	s_add_nc_u64 s[20:21], s[12:13], s[14:15]
	v_mov_b32_e32 v15, v14
	s_xor_b64 s[20:21], s[20:21], s[14:15]
	s_delay_alu instid0(VALU_DEP_2) | instskip(SKIP_4) | instid1(SALU_CYCLE_1)
	v_add_nc_u64_e32 v[12:13], v[4:5], v[8:9]
	s_cvt_f32_u32 s2, s20
	s_cvt_f32_u32 s15, s21
	s_sub_nc_u64 s[24:25], 0, s[20:21]
	v_dual_mov_b32 v19, v14 :: v_dual_mov_b32 v25, v14
	s_fmamk_f32 s2, s15, 0x4f800000, s2
	s_delay_alu instid0(VALU_DEP_2) | instskip(SKIP_3) | instid1(TRANS32_DEP_1)
	v_xor_b32_e32 v16, v12, v8
	v_xor_b32_e32 v18, v13, v8
	;; [unrolled: 1-line block ×3, first 2 shown]
	v_s_rcp_f32 s2, s2
	s_mul_f32 s2, s2, 0x5f7ffffc
	s_delay_alu instid0(SALU_CYCLE_3) | instskip(NEXT) | instid1(SALU_CYCLE_3)
	s_mul_f32 s15, s2, 0x2f800000
	s_trunc_f32 s15, s15
	s_delay_alu instid0(SALU_CYCLE_3) | instskip(SKIP_1) | instid1(SALU_CYCLE_2)
	s_fmamk_f32 s2, s15, 0xcf800000, s2
	s_cvt_u32_f32 s23, s15
	s_cvt_u32_f32 s22, s2
	s_delay_alu instid0(SALU_CYCLE_3) | instskip(NEXT) | instid1(SALU_CYCLE_1)
	s_mul_u64 s[26:27], s[24:25], s[22:23]
	s_mul_hi_u32 s31, s22, s27
	s_mul_i32 s30, s22, s27
	s_mul_hi_u32 s28, s22, s26
	s_mul_i32 s15, s23, s26
	s_add_nc_u64 s[30:31], s[28:29], s[30:31]
	s_mul_hi_u32 s2, s23, s26
	s_mul_hi_u32 s33, s23, s27
	s_add_co_u32 s15, s30, s15
	s_add_co_ci_u32 s28, s31, s2
	s_mul_i32 s26, s23, s27
	s_add_co_ci_u32 s27, s33, 0
	s_delay_alu instid0(SALU_CYCLE_1) | instskip(NEXT) | instid1(SALU_CYCLE_1)
	s_add_nc_u64 s[26:27], s[28:29], s[26:27]
	s_add_co_u32 s22, s22, s26
	s_cselect_b32 s2, -1, 0
	s_delay_alu instid0(SALU_CYCLE_1) | instskip(SKIP_1) | instid1(SALU_CYCLE_1)
	s_cmp_lg_u32 s2, 0
	s_add_co_ci_u32 s23, s23, s27
	s_mul_u64 s[24:25], s[24:25], s[22:23]
	s_delay_alu instid0(SALU_CYCLE_1)
	s_mul_hi_u32 s27, s22, s25
	s_mul_i32 s26, s22, s25
	s_mul_hi_u32 s28, s22, s24
	s_mul_i32 s15, s23, s24
	s_add_nc_u64 s[26:27], s[28:29], s[26:27]
	s_mul_hi_u32 s2, s23, s24
	s_mul_hi_u32 s30, s23, s25
	s_add_co_u32 s15, s26, s15
	s_add_co_ci_u32 s28, s27, s2
	s_mul_i32 s24, s23, s25
	s_add_co_ci_u32 s25, s30, 0
	s_delay_alu instid0(SALU_CYCLE_1) | instskip(NEXT) | instid1(SALU_CYCLE_1)
	s_add_nc_u64 s[24:25], s[28:29], s[24:25]
	s_add_co_u32 s2, s22, s24
	s_cselect_b32 s15, -1, 0
	v_nop
	v_mul_hi_u32 v24, v16, s2
	s_cmp_lg_u32 s15, 0
	s_add_co_ci_u32 s28, s23, s25
	s_mov_b64 s[22:23], 0xffffffff
	v_mul_u64_e32 v[20:21], s[28:29], v[16:17]
	s_and_b64 s[22:23], s[2:3], s[22:23]
	v_mul_u64_e32 v[22:23], s[28:29], v[18:19]
	v_mul_u64_e32 v[12:13], s[22:23], v[18:19]
	s_delay_alu instid0(VALU_DEP_3) | instskip(NEXT) | instid1(VALU_DEP_1)
	v_add_nc_u64_e32 v[20:21], v[24:25], v[20:21]
	v_add_co_u32 v9, vcc_lo, v20, v12
	s_delay_alu instid0(VALU_DEP_2) | instskip(SKIP_1) | instid1(VALU_DEP_1)
	v_add_co_ci_u32_e32 v14, vcc_lo, v21, v13, vcc_lo
	v_add_co_ci_u32_e32 v23, vcc_lo, 0, v23, vcc_lo
	v_add_nc_u64_e32 v[12:13], v[14:15], v[22:23]
	s_delay_alu instid0(VALU_DEP_1) | instskip(NEXT) | instid1(VALU_DEP_1)
	v_mul_u64_e32 v[14:15], s[20:21], v[12:13]
	v_sub_nc_u32_e32 v9, v18, v15
	s_delay_alu instid0(VALU_DEP_2) | instskip(NEXT) | instid1(VALU_DEP_1)
	v_sub_co_u32 v14, vcc_lo, v16, v14
	v_sub_co_ci_u32_e64 v18, null, v18, v15, vcc_lo
	s_delay_alu instid0(VALU_DEP_3) | instskip(NEXT) | instid1(VALU_DEP_3)
	v_subrev_co_ci_u32_e64 v9, null, s21, v9, vcc_lo
	v_sub_co_u32 v16, s2, v14, s20
	s_delay_alu instid0(VALU_DEP_1) | instskip(NEXT) | instid1(VALU_DEP_2)
	v_subrev_co_ci_u32_e64 v9, null, 0, v9, s2
	v_cmp_le_u32_e32 vcc_lo, s20, v16
	v_cndmask_b32_e64 v15, 0, -1, vcc_lo
	s_delay_alu instid0(VALU_DEP_3)
	v_cmp_le_u32_e32 vcc_lo, s21, v9
	v_cndmask_b32_e64 v16, 0, -1, vcc_lo
	v_cmp_le_u32_e32 vcc_lo, s20, v14
	v_cndmask_b32_e64 v19, 0, -1, vcc_lo
	;; [unrolled: 2-line block ×3, first 2 shown]
	v_cmp_eq_u32_e32 vcc_lo, s21, v9
	v_cndmask_b32_e32 v9, v16, v15, vcc_lo
	v_cmp_eq_u32_e32 vcc_lo, s21, v18
	v_add_nc_u64_e32 v[14:15], 2, v[12:13]
	v_add_nc_u64_e32 v[16:17], 1, v[12:13]
	v_cndmask_b32_e32 v18, v20, v19, vcc_lo
	v_cmp_ne_u32_e32 vcc_lo, 0, v9
	s_delay_alu instid0(VALU_DEP_2) | instskip(NEXT) | instid1(VALU_DEP_4)
	v_cmp_ne_u32_e64 s2, 0, v18
	v_dual_cndmask_b32 v14, v16, v14 :: v_dual_cndmask_b32 v9, v17, v15
	s_delay_alu instid0(VALU_DEP_1) | instskip(SKIP_1) | instid1(VALU_DEP_2)
	v_dual_cndmask_b32 v12, v12, v14, s2 :: v_dual_cndmask_b32 v13, v13, v9, s2
	v_mov_b32_e32 v9, v8
	v_xor_b32_e32 v12, v12, v8
	s_delay_alu instid0(VALU_DEP_3) | instskip(NEXT) | instid1(VALU_DEP_1)
	v_xor_b32_e32 v13, v13, v8
	v_sub_nc_u64_e32 v[12:13], v[12:13], v[8:9]
.LBB10_15:
	s_and_not1_saveexec_b32 s2, s3
	s_cbranch_execz .LBB10_17
; %bb.16:
	v_cvt_f32_u32_e32 v8, s12
	s_sub_co_i32 s3, 0, s12
	s_delay_alu instid0(VALU_DEP_1) | instskip(SKIP_1) | instid1(TRANS32_DEP_1)
	v_rcp_iflag_f32_e32 v8, v8
	v_nop
	v_mul_f32_e32 v8, 0x4f7ffffe, v8
	s_delay_alu instid0(VALU_DEP_1) | instskip(NEXT) | instid1(VALU_DEP_1)
	v_cvt_u32_f32_e32 v8, v8
	v_mul_lo_u32 v9, s3, v8
	s_delay_alu instid0(VALU_DEP_1) | instskip(NEXT) | instid1(VALU_DEP_1)
	v_mul_hi_u32 v9, v8, v9
	v_add_nc_u32_e32 v8, v8, v9
	s_delay_alu instid0(VALU_DEP_1) | instskip(NEXT) | instid1(VALU_DEP_1)
	v_mul_hi_u32 v8, v4, v8
	v_mul_lo_u32 v9, v8, s12
	s_delay_alu instid0(VALU_DEP_1) | instskip(NEXT) | instid1(VALU_DEP_1)
	v_sub_nc_u32_e32 v9, v4, v9
	v_subrev_nc_u32_e32 v13, s12, v9
	v_cmp_le_u32_e32 vcc_lo, s12, v9
	s_delay_alu instid0(VALU_DEP_2) | instskip(NEXT) | instid1(VALU_DEP_1)
	v_dual_cndmask_b32 v9, v9, v13 :: v_dual_add_nc_u32 v12, 1, v8
	v_dual_cndmask_b32 v8, v8, v12 :: v_dual_mov_b32 v13, 0
	s_delay_alu instid0(VALU_DEP_2) | instskip(NEXT) | instid1(VALU_DEP_2)
	v_cmp_le_u32_e32 vcc_lo, s12, v9
	v_add_nc_u32_e32 v12, 1, v8
	s_delay_alu instid0(VALU_DEP_1)
	v_cndmask_b32_e32 v12, v8, v12, vcc_lo
.LBB10_17:
	s_or_b32 exec_lo, exec_lo, s2
	s_delay_alu instid0(VALU_DEP_1) | instskip(SKIP_2) | instid1(VALU_DEP_2)
	v_mul_u64_e32 v[8:9], s[12:13], v[12:13]
	s_mov_b32 s2, exec_lo
	v_mov_b32_e32 v14, 0
	v_sub_nc_u64_e32 v[8:9], v[4:5], v[8:9]
                                        ; implicit-def: $vgpr4_vgpr5
	s_delay_alu instid0(VALU_DEP_1) | instskip(NEXT) | instid1(VALU_DEP_1)
	v_or_b32_e32 v15, s9, v9
	v_cmpx_ne_u64_e32 0, v[14:15]
	s_xor_b32 s3, exec_lo, s2
	s_cbranch_execz .LBB10_19
; %bb.18:
	s_ashr_i32 s12, s9, 31
	s_mov_b32 s27, 0
	s_mov_b32 s13, s12
	v_dual_mov_b32 v19, v14 :: v_dual_ashrrev_i32 v4, 31, v9
	s_add_nc_u64 s[14:15], s[8:9], s[12:13]
	v_mov_b32_e32 v21, v14
	s_xor_b64 s[14:15], s[14:15], s[12:13]
	s_delay_alu instid0(VALU_DEP_2)
	v_mov_b32_e32 v5, v4
	s_cvt_f32_u32 s2, s14
	s_cvt_f32_u32 s13, s15
	s_sub_nc_u64 s[22:23], 0, s[14:15]
	v_mov_b32_e32 v27, v14
	v_add_nc_u64_e32 v[16:17], v[8:9], v[4:5]
	s_fmamk_f32 s2, s13, 0x4f800000, s2
	v_mov_b32_e32 v15, v14
	s_delay_alu instid0(SALU_CYCLE_2) | instskip(NEXT) | instid1(VALU_DEP_2)
	v_s_rcp_f32 s2, s2
	v_xor_b32_e32 v18, v16, v4
	s_delay_alu instid0(VALU_DEP_3) | instskip(SKIP_1) | instid1(TRANS32_DEP_1)
	v_xor_b32_e32 v20, v17, v4
	v_xor_b32_e32 v4, s12, v4
	s_mul_f32 s2, s2, 0x5f7ffffc
	s_delay_alu instid0(SALU_CYCLE_3) | instskip(NEXT) | instid1(SALU_CYCLE_3)
	s_mul_f32 s13, s2, 0x2f800000
	s_trunc_f32 s13, s13
	s_delay_alu instid0(SALU_CYCLE_3) | instskip(SKIP_1) | instid1(SALU_CYCLE_2)
	s_fmamk_f32 s2, s13, 0xcf800000, s2
	s_cvt_u32_f32 s21, s13
	s_cvt_u32_f32 s20, s2
	s_delay_alu instid0(SALU_CYCLE_3) | instskip(NEXT) | instid1(SALU_CYCLE_1)
	s_mul_u64 s[24:25], s[22:23], s[20:21]
	s_mul_hi_u32 s29, s20, s25
	s_mul_i32 s28, s20, s25
	s_mul_hi_u32 s26, s20, s24
	s_mul_i32 s13, s21, s24
	s_add_nc_u64 s[28:29], s[26:27], s[28:29]
	s_mul_hi_u32 s2, s21, s24
	s_mul_hi_u32 s30, s21, s25
	s_add_co_u32 s13, s28, s13
	s_add_co_ci_u32 s26, s29, s2
	s_mul_i32 s24, s21, s25
	s_add_co_ci_u32 s25, s30, 0
	s_delay_alu instid0(SALU_CYCLE_1) | instskip(NEXT) | instid1(SALU_CYCLE_1)
	s_add_nc_u64 s[24:25], s[26:27], s[24:25]
	s_add_co_u32 s20, s20, s24
	s_cselect_b32 s2, -1, 0
	s_delay_alu instid0(SALU_CYCLE_1) | instskip(SKIP_1) | instid1(SALU_CYCLE_1)
	s_cmp_lg_u32 s2, 0
	s_add_co_ci_u32 s21, s21, s25
	s_mul_u64 s[22:23], s[22:23], s[20:21]
	s_delay_alu instid0(SALU_CYCLE_1)
	s_mul_hi_u32 s25, s20, s23
	s_mul_i32 s24, s20, s23
	s_mul_hi_u32 s26, s20, s22
	s_mul_i32 s13, s21, s22
	s_add_nc_u64 s[24:25], s[26:27], s[24:25]
	s_mul_hi_u32 s2, s21, s22
	s_mul_hi_u32 s28, s21, s23
	s_add_co_u32 s13, s24, s13
	s_add_co_ci_u32 s26, s25, s2
	s_mul_i32 s22, s21, s23
	s_add_co_ci_u32 s23, s28, 0
	s_delay_alu instid0(SALU_CYCLE_1) | instskip(NEXT) | instid1(SALU_CYCLE_1)
	s_add_nc_u64 s[22:23], s[26:27], s[22:23]
	s_add_co_u32 s2, s20, s22
	s_cselect_b32 s13, -1, 0
	v_mul_hi_u32 v26, v18, s2
	s_cmp_lg_u32 s13, 0
	s_add_co_ci_u32 s26, s21, s23
	s_mov_b64 s[20:21], 0xffffffff
	v_mul_u64_e32 v[22:23], s[26:27], v[18:19]
	s_and_b64 s[20:21], s[2:3], s[20:21]
	v_mul_u64_e32 v[24:25], s[26:27], v[20:21]
	v_mul_u64_e32 v[16:17], s[20:21], v[20:21]
	s_delay_alu instid0(VALU_DEP_3) | instskip(NEXT) | instid1(VALU_DEP_1)
	v_add_nc_u64_e32 v[22:23], v[26:27], v[22:23]
	v_add_co_u32 v5, vcc_lo, v22, v16
	s_delay_alu instid0(VALU_DEP_2) | instskip(SKIP_1) | instid1(VALU_DEP_1)
	v_add_co_ci_u32_e32 v14, vcc_lo, v23, v17, vcc_lo
	v_add_co_ci_u32_e32 v25, vcc_lo, 0, v25, vcc_lo
	v_add_nc_u64_e32 v[14:15], v[14:15], v[24:25]
	s_delay_alu instid0(VALU_DEP_1) | instskip(NEXT) | instid1(VALU_DEP_1)
	v_mul_u64_e32 v[16:17], s[14:15], v[14:15]
	v_sub_nc_u32_e32 v5, v20, v17
	s_delay_alu instid0(VALU_DEP_2) | instskip(NEXT) | instid1(VALU_DEP_1)
	v_sub_co_u32 v16, vcc_lo, v18, v16
	v_sub_co_ci_u32_e64 v20, null, v20, v17, vcc_lo
	s_delay_alu instid0(VALU_DEP_3) | instskip(NEXT) | instid1(VALU_DEP_3)
	v_subrev_co_ci_u32_e64 v5, null, s15, v5, vcc_lo
	v_sub_co_u32 v18, s2, v16, s14
	s_delay_alu instid0(VALU_DEP_1) | instskip(NEXT) | instid1(VALU_DEP_2)
	v_subrev_co_ci_u32_e64 v5, null, 0, v5, s2
	v_cmp_le_u32_e32 vcc_lo, s14, v18
	v_cndmask_b32_e64 v17, 0, -1, vcc_lo
	s_delay_alu instid0(VALU_DEP_3)
	v_cmp_le_u32_e32 vcc_lo, s15, v5
	v_cndmask_b32_e64 v18, 0, -1, vcc_lo
	v_cmp_le_u32_e32 vcc_lo, s14, v16
	v_cndmask_b32_e64 v21, 0, -1, vcc_lo
	v_cmp_le_u32_e32 vcc_lo, s15, v20
	v_cndmask_b32_e64 v22, 0, -1, vcc_lo
	v_cmp_eq_u32_e32 vcc_lo, s15, v5
	v_cndmask_b32_e32 v5, v18, v17, vcc_lo
	v_cmp_eq_u32_e32 vcc_lo, s15, v20
	v_add_nc_u64_e32 v[16:17], 2, v[14:15]
	v_add_nc_u64_e32 v[18:19], 1, v[14:15]
	v_cndmask_b32_e32 v20, v22, v21, vcc_lo
	v_cmp_ne_u32_e32 vcc_lo, 0, v5
	s_delay_alu instid0(VALU_DEP_2) | instskip(NEXT) | instid1(VALU_DEP_4)
	v_cmp_ne_u32_e64 s2, 0, v20
	v_dual_cndmask_b32 v16, v18, v16 :: v_dual_cndmask_b32 v5, v19, v17
	s_delay_alu instid0(VALU_DEP_1) | instskip(NEXT) | instid1(VALU_DEP_1)
	v_dual_cndmask_b32 v14, v14, v16, s2 :: v_dual_cndmask_b32 v15, v15, v5, s2
	v_dual_mov_b32 v5, v4 :: v_dual_bitop2_b32 v14, v14, v4 bitop3:0x14
	s_delay_alu instid0(VALU_DEP_2) | instskip(NEXT) | instid1(VALU_DEP_1)
	v_xor_b32_e32 v15, v15, v4
	v_sub_nc_u64_e32 v[4:5], v[14:15], v[4:5]
.LBB10_19:
	s_and_not1_saveexec_b32 s2, s3
	s_cbranch_execz .LBB10_21
; %bb.20:
	v_cvt_f32_u32_e32 v4, s8
	s_sub_co_i32 s3, 0, s8
	s_delay_alu instid0(VALU_DEP_1) | instskip(SKIP_1) | instid1(TRANS32_DEP_1)
	v_rcp_iflag_f32_e32 v4, v4
	v_nop
	v_mul_f32_e32 v4, 0x4f7ffffe, v4
	s_delay_alu instid0(VALU_DEP_1) | instskip(NEXT) | instid1(VALU_DEP_1)
	v_cvt_u32_f32_e32 v4, v4
	v_mul_lo_u32 v5, s3, v4
	s_delay_alu instid0(VALU_DEP_1) | instskip(NEXT) | instid1(VALU_DEP_1)
	v_mul_hi_u32 v5, v4, v5
	v_add_nc_u32_e32 v4, v4, v5
	s_delay_alu instid0(VALU_DEP_1) | instskip(NEXT) | instid1(VALU_DEP_1)
	v_mul_hi_u32 v4, v8, v4
	v_mul_lo_u32 v5, v4, s8
	s_delay_alu instid0(VALU_DEP_1) | instskip(NEXT) | instid1(VALU_DEP_1)
	v_dual_add_nc_u32 v14, 1, v4 :: v_dual_sub_nc_u32 v5, v8, v5
	v_subrev_nc_u32_e32 v15, s8, v5
	v_cmp_le_u32_e32 vcc_lo, s8, v5
	s_delay_alu instid0(VALU_DEP_2) | instskip(NEXT) | instid1(VALU_DEP_1)
	v_dual_cndmask_b32 v5, v5, v15 :: v_dual_cndmask_b32 v4, v4, v14
	v_cmp_le_u32_e32 vcc_lo, s8, v5
	s_delay_alu instid0(VALU_DEP_2) | instskip(NEXT) | instid1(VALU_DEP_1)
	v_dual_mov_b32 v5, 0 :: v_dual_add_nc_u32 v14, 1, v4
	v_cndmask_b32_e32 v4, v4, v14, vcc_lo
.LBB10_21:
	s_or_b32 exec_lo, exec_lo, s2
	s_delay_alu instid0(VALU_DEP_1) | instskip(SKIP_2) | instid1(VALU_DEP_2)
	v_mul_u64_e32 v[14:15], s[8:9], v[4:5]
	s_mov_b32 s2, exec_lo
	v_mov_b32_e32 v16, 0
	v_sub_nc_u64_e32 v[8:9], v[8:9], v[14:15]
                                        ; implicit-def: $vgpr14_vgpr15
	s_delay_alu instid0(VALU_DEP_1) | instskip(NEXT) | instid1(VALU_DEP_1)
	v_or_b32_e32 v17, s41, v9
	v_cmpx_ne_u64_e32 0, v[16:17]
	s_xor_b32 s3, exec_lo, s2
	s_cbranch_execz .LBB10_23
; %bb.22:
	s_ashr_i32 s8, s41, 31
	s_mov_b32 s25, 0
	s_mov_b32 s9, s8
	v_dual_mov_b32 v21, v16 :: v_dual_ashrrev_i32 v14, 31, v9
	s_add_nc_u64 s[12:13], s[40:41], s[8:9]
	v_mov_b32_e32 v23, v16
	s_xor_b64 s[12:13], s[12:13], s[8:9]
	s_delay_alu instid0(VALU_DEP_2)
	v_mov_b32_e32 v15, v14
	s_cvt_f32_u32 s2, s12
	s_cvt_f32_u32 s9, s13
	s_sub_nc_u64 s[20:21], 0, s[12:13]
	v_mov_b32_e32 v29, v16
	v_add_nc_u64_e32 v[18:19], v[8:9], v[14:15]
	s_fmamk_f32 s2, s9, 0x4f800000, s2
	v_mov_b32_e32 v17, v16
	s_delay_alu instid0(SALU_CYCLE_2) | instskip(NEXT) | instid1(VALU_DEP_2)
	v_s_rcp_f32 s2, s2
	v_xor_b32_e32 v20, v18, v14
	s_delay_alu instid0(VALU_DEP_3) | instskip(SKIP_1) | instid1(TRANS32_DEP_1)
	v_xor_b32_e32 v22, v19, v14
	v_xor_b32_e32 v14, s8, v14
	s_mul_f32 s2, s2, 0x5f7ffffc
	s_delay_alu instid0(SALU_CYCLE_3) | instskip(NEXT) | instid1(SALU_CYCLE_3)
	s_mul_f32 s9, s2, 0x2f800000
	s_trunc_f32 s9, s9
	s_delay_alu instid0(SALU_CYCLE_3) | instskip(SKIP_1) | instid1(SALU_CYCLE_2)
	s_fmamk_f32 s2, s9, 0xcf800000, s2
	s_cvt_u32_f32 s15, s9
	s_cvt_u32_f32 s14, s2
	s_delay_alu instid0(SALU_CYCLE_3) | instskip(NEXT) | instid1(SALU_CYCLE_1)
	s_mul_u64 s[22:23], s[20:21], s[14:15]
	s_mul_hi_u32 s27, s14, s23
	s_mul_i32 s26, s14, s23
	s_mul_hi_u32 s24, s14, s22
	s_mul_i32 s9, s15, s22
	s_add_nc_u64 s[26:27], s[24:25], s[26:27]
	s_mul_hi_u32 s2, s15, s22
	s_mul_hi_u32 s28, s15, s23
	s_add_co_u32 s9, s26, s9
	s_add_co_ci_u32 s24, s27, s2
	s_mul_i32 s22, s15, s23
	s_add_co_ci_u32 s23, s28, 0
	s_delay_alu instid0(SALU_CYCLE_1) | instskip(NEXT) | instid1(SALU_CYCLE_1)
	s_add_nc_u64 s[22:23], s[24:25], s[22:23]
	s_add_co_u32 s14, s14, s22
	s_cselect_b32 s2, -1, 0
	s_delay_alu instid0(SALU_CYCLE_1) | instskip(SKIP_1) | instid1(SALU_CYCLE_1)
	s_cmp_lg_u32 s2, 0
	s_add_co_ci_u32 s15, s15, s23
	s_mul_u64 s[20:21], s[20:21], s[14:15]
	s_delay_alu instid0(SALU_CYCLE_1)
	s_mul_hi_u32 s23, s14, s21
	s_mul_i32 s22, s14, s21
	s_mul_hi_u32 s24, s14, s20
	s_mul_i32 s9, s15, s20
	s_add_nc_u64 s[22:23], s[24:25], s[22:23]
	s_mul_hi_u32 s2, s15, s20
	s_mul_hi_u32 s26, s15, s21
	s_add_co_u32 s9, s22, s9
	s_add_co_ci_u32 s24, s23, s2
	s_mul_i32 s20, s15, s21
	s_add_co_ci_u32 s21, s26, 0
	s_delay_alu instid0(SALU_CYCLE_1) | instskip(NEXT) | instid1(SALU_CYCLE_1)
	s_add_nc_u64 s[20:21], s[24:25], s[20:21]
	s_add_co_u32 s2, s14, s20
	s_cselect_b32 s9, -1, 0
	v_mul_hi_u32 v28, v20, s2
	s_cmp_lg_u32 s9, 0
	s_add_co_ci_u32 s24, s15, s21
	s_mov_b64 s[14:15], 0xffffffff
	v_mul_u64_e32 v[24:25], s[24:25], v[20:21]
	s_and_b64 s[14:15], s[2:3], s[14:15]
	v_mul_u64_e32 v[26:27], s[24:25], v[22:23]
	v_mul_u64_e32 v[18:19], s[14:15], v[22:23]
	s_delay_alu instid0(VALU_DEP_3) | instskip(NEXT) | instid1(VALU_DEP_1)
	v_add_nc_u64_e32 v[24:25], v[28:29], v[24:25]
	v_add_co_u32 v15, vcc_lo, v24, v18
	s_delay_alu instid0(VALU_DEP_2) | instskip(SKIP_1) | instid1(VALU_DEP_1)
	v_add_co_ci_u32_e32 v16, vcc_lo, v25, v19, vcc_lo
	v_add_co_ci_u32_e32 v27, vcc_lo, 0, v27, vcc_lo
	v_add_nc_u64_e32 v[16:17], v[16:17], v[26:27]
	s_delay_alu instid0(VALU_DEP_1) | instskip(NEXT) | instid1(VALU_DEP_1)
	v_mul_u64_e32 v[18:19], s[12:13], v[16:17]
	v_sub_nc_u32_e32 v15, v22, v19
	s_delay_alu instid0(VALU_DEP_2) | instskip(NEXT) | instid1(VALU_DEP_1)
	v_sub_co_u32 v18, vcc_lo, v20, v18
	v_sub_co_ci_u32_e64 v22, null, v22, v19, vcc_lo
	s_delay_alu instid0(VALU_DEP_3) | instskip(NEXT) | instid1(VALU_DEP_3)
	v_subrev_co_ci_u32_e64 v15, null, s13, v15, vcc_lo
	v_sub_co_u32 v20, s2, v18, s12
	s_delay_alu instid0(VALU_DEP_1) | instskip(NEXT) | instid1(VALU_DEP_2)
	v_subrev_co_ci_u32_e64 v15, null, 0, v15, s2
	v_cmp_le_u32_e32 vcc_lo, s12, v20
	v_cndmask_b32_e64 v19, 0, -1, vcc_lo
	s_delay_alu instid0(VALU_DEP_3)
	v_cmp_le_u32_e32 vcc_lo, s13, v15
	v_cndmask_b32_e64 v20, 0, -1, vcc_lo
	v_cmp_le_u32_e32 vcc_lo, s12, v18
	v_cndmask_b32_e64 v23, 0, -1, vcc_lo
	;; [unrolled: 2-line block ×3, first 2 shown]
	v_cmp_eq_u32_e32 vcc_lo, s13, v15
	v_cndmask_b32_e32 v15, v20, v19, vcc_lo
	v_cmp_eq_u32_e32 vcc_lo, s13, v22
	v_add_nc_u64_e32 v[18:19], 2, v[16:17]
	v_add_nc_u64_e32 v[20:21], 1, v[16:17]
	v_cndmask_b32_e32 v22, v24, v23, vcc_lo
	v_cmp_ne_u32_e32 vcc_lo, 0, v15
	s_delay_alu instid0(VALU_DEP_2) | instskip(NEXT) | instid1(VALU_DEP_4)
	v_cmp_ne_u32_e64 s2, 0, v22
	v_dual_cndmask_b32 v18, v20, v18 :: v_dual_cndmask_b32 v15, v21, v19
	s_delay_alu instid0(VALU_DEP_1) | instskip(NEXT) | instid1(VALU_DEP_1)
	v_dual_cndmask_b32 v16, v16, v18, s2 :: v_dual_cndmask_b32 v17, v17, v15, s2
	v_dual_mov_b32 v15, v14 :: v_dual_bitop2_b32 v16, v16, v14 bitop3:0x14
	s_delay_alu instid0(VALU_DEP_2) | instskip(NEXT) | instid1(VALU_DEP_1)
	v_xor_b32_e32 v17, v17, v14
	v_sub_nc_u64_e32 v[14:15], v[16:17], v[14:15]
.LBB10_23:
	s_and_not1_saveexec_b32 s2, s3
	s_cbranch_execz .LBB10_25
; %bb.24:
	v_cvt_f32_u32_e32 v14, s40
	s_sub_co_i32 s3, 0, s40
	s_delay_alu instid0(VALU_DEP_1) | instskip(SKIP_1) | instid1(TRANS32_DEP_1)
	v_rcp_iflag_f32_e32 v14, v14
	v_nop
	v_mul_f32_e32 v14, 0x4f7ffffe, v14
	s_delay_alu instid0(VALU_DEP_1) | instskip(NEXT) | instid1(VALU_DEP_1)
	v_cvt_u32_f32_e32 v14, v14
	v_mul_lo_u32 v15, s3, v14
	s_delay_alu instid0(VALU_DEP_1) | instskip(NEXT) | instid1(VALU_DEP_1)
	v_mul_hi_u32 v15, v14, v15
	v_add_nc_u32_e32 v14, v14, v15
	s_delay_alu instid0(VALU_DEP_1) | instskip(NEXT) | instid1(VALU_DEP_1)
	v_mul_hi_u32 v14, v8, v14
	v_mul_lo_u32 v15, v14, s40
	s_delay_alu instid0(VALU_DEP_1) | instskip(NEXT) | instid1(VALU_DEP_1)
	v_dual_add_nc_u32 v16, 1, v14 :: v_dual_sub_nc_u32 v15, v8, v15
	v_subrev_nc_u32_e32 v17, s40, v15
	v_cmp_le_u32_e32 vcc_lo, s40, v15
	s_delay_alu instid0(VALU_DEP_2) | instskip(NEXT) | instid1(VALU_DEP_1)
	v_dual_cndmask_b32 v15, v15, v17 :: v_dual_cndmask_b32 v14, v14, v16
	v_cmp_le_u32_e32 vcc_lo, s40, v15
	s_delay_alu instid0(VALU_DEP_2) | instskip(NEXT) | instid1(VALU_DEP_1)
	v_dual_mov_b32 v15, 0 :: v_dual_add_nc_u32 v16, 1, v14
	v_cndmask_b32_e32 v14, v14, v16, vcc_lo
.LBB10_25:
	s_or_b32 exec_lo, exec_lo, s2
	v_mul_u64_e32 v[16:17], s[10:11], v[10:11]
	s_load_b64 s[0:1], s[0:1], 0x80
	s_mov_b32 s3, 0
	s_delay_alu instid0(SALU_CYCLE_1) | instskip(NEXT) | instid1(VALU_DEP_1)
	s_mov_b32 s2, s3
	v_sub_nc_u64_e32 v[6:7], v[6:7], v[16:17]
	s_delay_alu instid0(VALU_DEP_1) | instskip(NEXT) | instid1(VALU_DEP_1)
	v_mad_nc_u64_u32 v[16:17], v6, s16, s[4:5]
	v_mad_u32 v7, v7, s16, v17
	s_delay_alu instid0(VALU_DEP_1) | instskip(NEXT) | instid1(VALU_DEP_1)
	v_mad_u32 v17, v6, s17, v7
	v_mad_nc_u64_u32 v[6:7], v10, s18, v[16:17]
	s_delay_alu instid0(VALU_DEP_1) | instskip(NEXT) | instid1(VALU_DEP_1)
	v_mad_u32 v7, v11, s18, v7
	v_mad_u32 v7, v10, s19, v7
	s_delay_alu instid0(VALU_DEP_1) | instskip(NEXT) | instid1(VALU_DEP_1)
	v_mad_nc_u64_u32 v[6:7], v2, s36, v[6:7]
	v_mad_u32 v3, v3, s36, v7
	s_delay_alu instid0(VALU_DEP_1) | instskip(NEXT) | instid1(VALU_DEP_1)
	v_mad_u32 v7, v2, s37, v3
	v_mad_nc_u64_u32 v[2:3], v0, s38, v[6:7]
	s_delay_alu instid0(VALU_DEP_1) | instskip(NEXT) | instid1(VALU_DEP_1)
	v_mad_u32 v1, v1, s38, v3
	v_mad_u32 v3, v0, s39, v1
	s_clause 0x7
	global_load_b128 v[16:19], v[2:3], off
	global_load_b128 v[20:23], v[2:3], off offset:16
	global_load_b128 v[24:27], v[2:3], off offset:32
	;; [unrolled: 1-line block ×7, first 2 shown]
	s_wait_loadcnt 0x7
	v_cmp_lg_f32_e32 vcc_lo, 0, v16
	v_cndmask_b32_e64 v1, 0, |v16|, vcc_lo
	v_cndmask_b32_e32 v0, 0, v16, vcc_lo
	s_delay_alu instid0(VALU_DEP_2) | instskip(NEXT) | instid1(VALU_DEP_1)
	v_cmp_lt_f32_e64 vcc_lo, v1, |v17|
	v_cndmask_b32_e64 v1, v1, |v17|, vcc_lo
	s_delay_alu instid0(VALU_DEP_3) | instskip(NEXT) | instid1(VALU_DEP_2)
	v_cndmask_b32_e32 v0, v0, v17, vcc_lo
	v_cmp_lt_f32_e64 vcc_lo, v1, |v18|
	s_delay_alu instid0(VALU_DEP_1) | instskip(NEXT) | instid1(VALU_DEP_3)
	v_cndmask_b32_e64 v1, v1, |v18|, vcc_lo
	v_cndmask_b32_e32 v0, v0, v18, vcc_lo
	s_delay_alu instid0(VALU_DEP_2) | instskip(NEXT) | instid1(VALU_DEP_1)
	v_cmp_lt_f32_e64 vcc_lo, v1, |v19|
	v_cndmask_b32_e64 v1, v1, |v19|, vcc_lo
	s_delay_alu instid0(VALU_DEP_3) | instskip(SKIP_1) | instid1(VALU_DEP_2)
	v_cndmask_b32_e32 v0, v0, v19, vcc_lo
	s_wait_loadcnt 0x6
	v_cmp_lt_f32_e64 vcc_lo, v1, |v20|
	s_delay_alu instid0(VALU_DEP_1) | instskip(NEXT) | instid1(VALU_DEP_3)
	v_cndmask_b32_e64 v1, v1, |v20|, vcc_lo
	v_cndmask_b32_e32 v0, v0, v20, vcc_lo
	s_delay_alu instid0(VALU_DEP_2) | instskip(NEXT) | instid1(VALU_DEP_1)
	v_cmp_lt_f32_e64 vcc_lo, v1, |v21|
	v_cndmask_b32_e64 v1, v1, |v21|, vcc_lo
	s_delay_alu instid0(VALU_DEP_3) | instskip(NEXT) | instid1(VALU_DEP_2)
	v_cndmask_b32_e32 v0, v0, v21, vcc_lo
	v_cmp_lt_f32_e64 vcc_lo, v1, |v22|
	s_delay_alu instid0(VALU_DEP_1) | instskip(NEXT) | instid1(VALU_DEP_3)
	v_cndmask_b32_e64 v1, v1, |v22|, vcc_lo
	v_cndmask_b32_e32 v0, v0, v22, vcc_lo
	s_delay_alu instid0(VALU_DEP_2) | instskip(NEXT) | instid1(VALU_DEP_1)
	v_cmp_lt_f32_e64 vcc_lo, v1, |v23|
	v_cndmask_b32_e64 v1, v1, |v23|, vcc_lo
	s_delay_alu instid0(VALU_DEP_3) | instskip(SKIP_1) | instid1(VALU_DEP_2)
	v_cndmask_b32_e32 v0, v0, v23, vcc_lo
	s_wait_loadcnt 0x5
	v_cmp_lt_f32_e64 vcc_lo, v1, |v24|
	s_delay_alu instid0(VALU_DEP_1) | instskip(NEXT) | instid1(VALU_DEP_3)
	;; [unrolled: 19-line block ×5, first 2 shown]
	v_cndmask_b32_e64 v1, v1, |v36|, vcc_lo
	v_cndmask_b32_e32 v0, v0, v36, vcc_lo
	s_delay_alu instid0(VALU_DEP_2) | instskip(NEXT) | instid1(VALU_DEP_1)
	v_cmp_lt_f32_e64 vcc_lo, v1, |v37|
	v_cndmask_b32_e64 v1, v1, |v37|, vcc_lo
	s_delay_alu instid0(VALU_DEP_3) | instskip(NEXT) | instid1(VALU_DEP_2)
	v_cndmask_b32_e32 v0, v0, v37, vcc_lo
	v_cmp_lt_f32_e64 vcc_lo, v1, |v38|
	s_delay_alu instid0(VALU_DEP_1) | instskip(NEXT) | instid1(VALU_DEP_3)
	v_cndmask_b32_e64 v7, v1, |v38|, vcc_lo
	v_cndmask_b32_e32 v6, v0, v38, vcc_lo
	v_mul_u64_e32 v[0:1], s[40:41], v[14:15]
	s_delay_alu instid0(VALU_DEP_3) | instskip(NEXT) | instid1(VALU_DEP_1)
	v_cmp_lt_f32_e64 vcc_lo, v7, |v39|
	v_cndmask_b32_e64 v7, v7, |v39|, vcc_lo
	s_delay_alu instid0(VALU_DEP_4) | instskip(SKIP_1) | instid1(VALU_DEP_2)
	v_cndmask_b32_e32 v6, v6, v39, vcc_lo
	s_wait_loadcnt 0x1
	v_cmp_lt_f32_e64 vcc_lo, v7, |v40|
	s_delay_alu instid0(VALU_DEP_1) | instskip(NEXT) | instid1(VALU_DEP_3)
	v_cndmask_b32_e64 v7, v7, |v40|, vcc_lo
	v_cndmask_b32_e32 v6, v6, v40, vcc_lo
	s_delay_alu instid0(VALU_DEP_2) | instskip(NEXT) | instid1(VALU_DEP_1)
	v_cmp_lt_f32_e64 vcc_lo, v7, |v41|
	v_cndmask_b32_e64 v11, v7, |v41|, vcc_lo
	s_delay_alu instid0(VALU_DEP_3) | instskip(SKIP_1) | instid1(VALU_DEP_3)
	v_cndmask_b32_e32 v10, v6, v41, vcc_lo
	v_sub_nc_u64_e32 v[6:7], v[8:9], v[0:1]
	v_cmp_lt_f32_e64 vcc_lo, v11, |v42|
	v_mov_b32_e32 v1, 0
	s_delay_alu instid0(VALU_DEP_2) | instskip(NEXT) | instid1(VALU_DEP_4)
	v_cndmask_b32_e64 v9, v11, |v42|, vcc_lo
	v_dual_cndmask_b32 v8, v10, v42, vcc_lo :: v_dual_ashrrev_i32 v0, 31, v7
	s_delay_alu instid0(VALU_DEP_2) | instskip(NEXT) | instid1(VALU_DEP_1)
	v_cmp_lt_f32_e64 vcc_lo, v9, |v43|
	v_dual_lshrrev_b32 v0, 27, v0 :: v_dual_cndmask_b32 v8, v8, v43, vcc_lo
	v_cndmask_b32_e64 v9, v9, |v43|, vcc_lo
	s_delay_alu instid0(VALU_DEP_2) | instskip(SKIP_1) | instid1(VALU_DEP_2)
	v_add_nc_u64_e32 v[6:7], v[6:7], v[0:1]
	s_wait_loadcnt 0x0
	v_cmp_lt_f32_e64 vcc_lo, v9, |v44|
	s_delay_alu instid0(VALU_DEP_2) | instskip(NEXT) | instid1(VALU_DEP_2)
	v_ashrrev_i64 v[6:7], 5, v[6:7]
	v_cndmask_b32_e64 v10, v9, |v44|, vcc_lo
	v_cndmask_b32_e32 v0, v8, v44, vcc_lo
	s_delay_alu instid0(VALU_DEP_3) | instskip(NEXT) | instid1(VALU_DEP_3)
	v_mad_nc_u64_u32 v[8:9], v6, s46, s[6:7]
	v_cmp_lt_f32_e64 vcc_lo, v10, |v45|
	s_delay_alu instid0(VALU_DEP_1) | instskip(NEXT) | instid1(VALU_DEP_4)
	v_cndmask_b32_e64 v10, v10, |v45|, vcc_lo
	v_cndmask_b32_e32 v0, v0, v45, vcc_lo
	s_delay_alu instid0(VALU_DEP_2) | instskip(SKIP_1) | instid1(VALU_DEP_2)
	v_cmp_lt_f32_e64 vcc_lo, v10, |v46|
	v_mad_u32 v7, v7, s46, v9
	v_cndmask_b32_e64 v9, v10, |v46|, vcc_lo
	s_delay_alu instid0(VALU_DEP_4) | instskip(NEXT) | instid1(VALU_DEP_2)
	v_cndmask_b32_e32 v0, v0, v46, vcc_lo
	v_cmp_lt_f32_e64 vcc_lo, v9, |v47|
	s_delay_alu instid0(VALU_DEP_4) | instskip(NEXT) | instid1(VALU_DEP_3)
	v_mad_u32 v9, v6, s47, v7
	v_cndmask_b32_e32 v0, v0, v47, vcc_lo
	s_delay_alu instid0(VALU_DEP_1) | instskip(NEXT) | instid1(VALU_DEP_3)
	v_div_scale_f32 v10, null, 0xc2fe0000, 0xc2fe0000, v0
	v_mad_nc_u64_u32 v[6:7], v14, s48, v[8:9]
	v_div_scale_f32 v9, vcc_lo, v0, 0xc2fe0000, v0
	s_delay_alu instid0(VALU_DEP_3) | instskip(SKIP_1) | instid1(TRANS32_DEP_1)
	v_rcp_f32_e32 v11, v10
	v_nop
	v_fma_f32 v8, -v10, v11, 1.0
	s_delay_alu instid0(VALU_DEP_4) | instskip(NEXT) | instid1(VALU_DEP_2)
	v_mad_u32 v7, v15, s48, v7
	v_fmac_f32_e32 v11, v8, v11
	s_delay_alu instid0(VALU_DEP_1) | instskip(NEXT) | instid1(VALU_DEP_3)
	v_mul_f32_e32 v8, v9, v11
	v_mad_u32 v7, v14, s49, v7
	s_delay_alu instid0(VALU_DEP_2) | instskip(NEXT) | instid1(VALU_DEP_1)
	v_fma_f32 v15, -v10, v8, v9
	v_fmac_f32_e32 v8, v15, v11
	s_delay_alu instid0(VALU_DEP_3) | instskip(NEXT) | instid1(VALU_DEP_2)
	v_mad_nc_u64_u32 v[6:7], v4, s50, v[6:7]
	v_fma_f32 v9, -v10, v8, v9
	s_delay_alu instid0(VALU_DEP_1) | instskip(NEXT) | instid1(VALU_DEP_3)
	v_div_fmas_f32 v8, v9, v11, v8
	v_mad_u32 v5, v5, s50, v7
	s_delay_alu instid0(VALU_DEP_2) | instskip(NEXT) | instid1(VALU_DEP_1)
	v_div_fixup_f32 v14, v8, 0xc2fe0000, v0
	v_div_scale_f32 v0, null, v14, v14, 1.0
	v_div_scale_f32 v10, vcc_lo, 1.0, v14, 1.0
	s_delay_alu instid0(VALU_DEP_2) | instskip(NEXT) | instid1(VALU_DEP_4)
	v_rcp_f32_e32 v8, v0
	v_mad_u32 v7, v4, s51, v5
	s_delay_alu instid0(TRANS32_DEP_1) | instskip(SKIP_1) | instid1(VALU_DEP_2)
	v_fma_f32 v9, -v0, v8, 1.0
	s_wait_kmcnt 0x0
	v_mad_nc_u64_u32 v[4:5], v12, s0, v[6:7]
	s_delay_alu instid0(VALU_DEP_2) | instskip(NEXT) | instid1(VALU_DEP_1)
	v_fmac_f32_e32 v8, v9, v8
	v_mul_f32_e32 v9, v10, v8
	s_delay_alu instid0(VALU_DEP_1) | instskip(NEXT) | instid1(VALU_DEP_4)
	v_fma_f32 v6, -v0, v9, v10
	v_mad_u32 v5, v13, s0, v5
	s_delay_alu instid0(VALU_DEP_2) | instskip(NEXT) | instid1(VALU_DEP_1)
	v_fmac_f32_e32 v9, v6, v8
	v_fma_f32 v0, -v0, v9, v10
	s_delay_alu instid0(VALU_DEP_3) | instskip(SKIP_2) | instid1(VALU_DEP_2)
	v_mad_u32 v5, v12, s1, v5
	s_get_pc_i64 s[0:1]
	s_add_nc_u64 s[0:1], s[0:1], _ZL13kvalues_iq4nl@rel64+4
	v_div_fmas_f32 v0, v0, v8, v9
	v_cmp_neq_f32_e32 vcc_lo, 0, v14
	s_delay_alu instid0(VALU_DEP_2) | instskip(NEXT) | instid1(VALU_DEP_1)
	v_div_fixup_f32 v0, v0, v14, 1.0
	v_dual_cndmask_b32 v12, 0, v0, vcc_lo :: v_dual_mov_b32 v0, v1
	s_branch .LBB10_28
.LBB10_26:                              ;   in Loop: Header=BB10_28 Depth=1
	s_or_b32 exec_lo, exec_lo, s5
.LBB10_27:                              ;   in Loop: Header=BB10_28 Depth=1
	s_delay_alu instid0(SALU_CYCLE_1) | instskip(NEXT) | instid1(VALU_DEP_1)
	s_or_b32 exec_lo, exec_lo, s4
	v_and_b32_e32 v8, 0xff, v9
	v_and_b32_e32 v10, 0xff, v13
	s_clause 0x1
	global_load_i8 v15, v8, s[0:1]
	global_load_i8 v16, v10, s[0:1]
	s_wait_xcnt 0x0
	v_pk_mul_f32 v[10:11], v[6:7], v[6:7]
	v_lshl_or_b32 v8, v9, 4, v13
	s_wait_loadcnt 0x1
	v_cvt_f32_i32_e32 v17, v15
	s_wait_loadcnt 0x0
	v_cvt_f32_i32_e32 v16, v16
	s_delay_alu instid0(VALU_DEP_2) | instskip(NEXT) | instid1(VALU_DEP_2)
	v_dual_mov_b32 v19, v6 :: v_dual_mov_b32 v18, v17
	v_pk_mul_f32 v[10:11], v[10:11], v[16:17]
	v_mov_b32_e32 v17, v7
	s_delay_alu instid0(VALU_DEP_2) | instskip(NEXT) | instid1(VALU_DEP_1)
	v_pk_mul_f32 v[6:7], v[18:19], v[10:11] op_sel:[0,1] op_sel_hi:[1,0]
	v_pk_fma_f32 v[6:7], v[16:17], v[10:11], v[6:7]
	v_add_nc_u64_e32 v[10:11], s[2:3], v[4:5]
	s_add_co_i32 s2, s2, 1
	s_delay_alu instid0(SALU_CYCLE_1) | instskip(NEXT) | instid1(VALU_DEP_2)
	s_cmp_lg_u32 s2, 16
	v_pk_add_f32 v[0:1], v[0:1], v[6:7]
	global_store_b8 v[10:11], v8, off offset:2
	s_cbranch_scc0 .LBB10_39
.LBB10_28:                              ; =>This Loop Header: Depth=1
                                        ;     Child Loop BB10_31 Depth 2
                                        ;     Child Loop BB10_37 Depth 2
	s_wait_xcnt 0x0
	v_lshl_add_u64 v[8:9], s[2:3], 2, v[2:3]
	s_mov_b32 s4, exec_lo
	s_clause 0x1
	global_load_b32 v6, v[8:9], off
	global_load_b32 v7, v[8:9], off offset:64
	s_wait_loadcnt 0x1
	s_wait_xcnt 0x0
	v_dual_mov_b32 v13, 0 :: v_dual_mul_f32 v8, v12, v6
	s_delay_alu instid0(VALU_DEP_1)
	v_cmpx_nge_f32_e32 0xc2fe0000, v8
	s_cbranch_execz .LBB10_34
; %bb.29:                               ;   in Loop: Header=BB10_28 Depth=1
	v_mov_b32_e32 v13, 15
	s_mov_b32 s5, exec_lo
	v_cmpx_nle_f32_e32 0x42e20000, v8
	s_cbranch_execz .LBB10_33
; %bb.30:                               ;   in Loop: Header=BB10_28 Depth=1
	v_dual_mov_b32 v10, 15 :: v_dual_mov_b32 v9, 0
	s_mov_b32 s6, 0
.LBB10_31:                              ;   Parent Loop BB10_28 Depth=1
                                        ; =>  This Inner Loop Header: Depth=2
	s_delay_alu instid0(VALU_DEP_1) | instskip(NEXT) | instid1(VALU_DEP_1)
	v_add_nc_u32_e32 v11, v9, v10
	v_lshrrev_b32_e32 v13, 31, v11
	s_delay_alu instid0(VALU_DEP_1) | instskip(NEXT) | instid1(VALU_DEP_1)
	v_add_nc_u32_e32 v11, v11, v13
	v_ashrrev_i32_e32 v11, 1, v11
	global_load_i8 v13, v11, s[0:1]
	s_wait_loadcnt 0x0
	v_cvt_f32_i32_e32 v13, v13
	s_delay_alu instid0(VALU_DEP_1) | instskip(SKIP_2) | instid1(VALU_DEP_1)
	v_cmp_lt_f32_e32 vcc_lo, v8, v13
	v_dual_cndmask_b32 v9, v11, v9 :: v_dual_cndmask_b32 v10, v10, v11
	s_wait_xcnt 0x0
	v_sub_nc_u32_e32 v11, v10, v9
	s_delay_alu instid0(VALU_DEP_1) | instskip(SKIP_1) | instid1(SALU_CYCLE_1)
	v_cmp_gt_i32_e32 vcc_lo, 2, v11
	s_or_b32 s6, vcc_lo, s6
	s_and_not1_b32 exec_lo, exec_lo, s6
	s_cbranch_execnz .LBB10_31
; %bb.32:                               ;   in Loop: Header=BB10_28 Depth=1
	s_or_b32 exec_lo, exec_lo, s6
	v_ashrrev_i32_e32 v11, 31, v10
	s_delay_alu instid0(VALU_DEP_1) | instskip(NEXT) | instid1(VALU_DEP_1)
	v_add_nc_u64_e32 v[16:17], -1, v[10:11]
	v_add_nc_u64_e32 v[18:19], s[0:1], v[16:17]
	global_load_u16 v9, v[18:19], off
	s_wait_xcnt 0x0
	v_mov_b32_e32 v19, v8
	s_wait_loadcnt 0x0
	v_bfe_i32 v11, v9, 0, 8
	v_ashrrev_i16 v9, 8, v9
	s_delay_alu instid0(VALU_DEP_2) | instskip(NEXT) | instid1(VALU_DEP_2)
	v_bfe_i32 v11, v11, 0, 16
	v_bfe_i32 v9, v9, 0, 16
	s_delay_alu instid0(VALU_DEP_2) | instskip(NEXT) | instid1(VALU_DEP_2)
	v_cvt_f32_i32_e32 v18, v11
	v_cvt_f32_i32_e32 v9, v9
	s_delay_alu instid0(VALU_DEP_1) | instskip(NEXT) | instid1(VALU_DEP_1)
	v_pk_add_f32 v[8:9], v[8:9], v[18:19] neg_lo:[0,1] neg_hi:[0,1]
	v_cmp_lt_f32_e32 vcc_lo, v8, v9
	v_cndmask_b32_e32 v13, v10, v16, vcc_lo
.LBB10_33:                              ;   in Loop: Header=BB10_28 Depth=1
	s_or_b32 exec_lo, exec_lo, s5
.LBB10_34:                              ;   in Loop: Header=BB10_28 Depth=1
	s_delay_alu instid0(SALU_CYCLE_1) | instskip(SKIP_3) | instid1(VALU_DEP_1)
	s_or_b32 exec_lo, exec_lo, s4
	s_wait_loadcnt 0x0
	v_dual_mul_f32 v8, v12, v7 :: v_dual_mov_b32 v9, 0
	s_mov_b32 s4, exec_lo
	v_cmpx_nge_f32_e32 0xc2fe0000, v8
	s_cbranch_execz .LBB10_27
; %bb.35:                               ;   in Loop: Header=BB10_28 Depth=1
	v_mov_b32_e32 v9, 15
	s_mov_b32 s5, exec_lo
	v_cmpx_nle_f32_e32 0x42e20000, v8
	s_cbranch_execz .LBB10_26
; %bb.36:                               ;   in Loop: Header=BB10_28 Depth=1
	v_dual_mov_b32 v10, 15 :: v_dual_mov_b32 v9, 0
	s_mov_b32 s6, 0
.LBB10_37:                              ;   Parent Loop BB10_28 Depth=1
                                        ; =>  This Inner Loop Header: Depth=2
	s_delay_alu instid0(VALU_DEP_1) | instskip(NEXT) | instid1(VALU_DEP_1)
	v_add_nc_u32_e32 v11, v9, v10
	v_lshrrev_b32_e32 v15, 31, v11
	s_delay_alu instid0(VALU_DEP_1) | instskip(NEXT) | instid1(VALU_DEP_1)
	v_add_nc_u32_e32 v11, v11, v15
	v_ashrrev_i32_e32 v11, 1, v11
	global_load_i8 v15, v11, s[0:1]
	s_wait_loadcnt 0x0
	v_cvt_f32_i32_e32 v15, v15
	s_delay_alu instid0(VALU_DEP_1) | instskip(SKIP_2) | instid1(VALU_DEP_1)
	v_cmp_lt_f32_e32 vcc_lo, v8, v15
	v_dual_cndmask_b32 v9, v11, v9 :: v_dual_cndmask_b32 v10, v10, v11
	s_wait_xcnt 0x0
	v_sub_nc_u32_e32 v11, v10, v9
	s_delay_alu instid0(VALU_DEP_1) | instskip(SKIP_1) | instid1(SALU_CYCLE_1)
	v_cmp_gt_i32_e32 vcc_lo, 2, v11
	s_or_b32 s6, vcc_lo, s6
	s_and_not1_b32 exec_lo, exec_lo, s6
	s_cbranch_execnz .LBB10_37
; %bb.38:                               ;   in Loop: Header=BB10_28 Depth=1
	s_or_b32 exec_lo, exec_lo, s6
	v_ashrrev_i32_e32 v11, 31, v10
	s_delay_alu instid0(VALU_DEP_1) | instskip(NEXT) | instid1(VALU_DEP_1)
	v_add_nc_u64_e32 v[16:17], -1, v[10:11]
	v_add_nc_u64_e32 v[18:19], s[0:1], v[16:17]
	global_load_u16 v9, v[18:19], off
	s_wait_xcnt 0x0
	v_mov_b32_e32 v19, v8
	s_wait_loadcnt 0x0
	v_bfe_i32 v11, v9, 0, 8
	v_ashrrev_i16 v9, 8, v9
	s_delay_alu instid0(VALU_DEP_2) | instskip(NEXT) | instid1(VALU_DEP_2)
	v_bfe_i32 v11, v11, 0, 16
	v_bfe_i32 v9, v9, 0, 16
	s_delay_alu instid0(VALU_DEP_2) | instskip(NEXT) | instid1(VALU_DEP_2)
	v_cvt_f32_i32_e32 v18, v11
	v_cvt_f32_i32_e32 v9, v9
	s_delay_alu instid0(VALU_DEP_1) | instskip(NEXT) | instid1(VALU_DEP_1)
	v_pk_add_f32 v[8:9], v[8:9], v[18:19] neg_lo:[0,1] neg_hi:[0,1]
	v_cmp_lt_f32_e32 vcc_lo, v8, v9
	v_cndmask_b32_e32 v9, v10, v16, vcc_lo
	s_branch .LBB10_26
.LBB10_39:
	v_div_scale_f32 v2, null, v0, v0, v1
	s_delay_alu instid0(VALU_DEP_1) | instskip(SKIP_1) | instid1(TRANS32_DEP_1)
	v_rcp_f32_e32 v3, v2
	v_nop
	v_fma_f32 v6, -v2, v3, 1.0
	s_delay_alu instid0(VALU_DEP_1) | instskip(SKIP_1) | instid1(VALU_DEP_1)
	v_fmac_f32_e32 v3, v6, v3
	v_div_scale_f32 v6, vcc_lo, v1, v0, v1
	v_mul_f32_e32 v7, v6, v3
	s_wait_xcnt 0x0
	s_delay_alu instid0(VALU_DEP_1) | instskip(NEXT) | instid1(VALU_DEP_1)
	v_fma_f32 v8, -v2, v7, v6
	v_fmac_f32_e32 v7, v8, v3
	s_delay_alu instid0(VALU_DEP_1) | instskip(NEXT) | instid1(VALU_DEP_1)
	v_fma_f32 v2, -v2, v7, v6
	v_div_fmas_f32 v2, v2, v3, v7
	v_cmp_lt_f32_e32 vcc_lo, 0, v0
	s_delay_alu instid0(VALU_DEP_2) | instskip(NEXT) | instid1(VALU_DEP_1)
	v_div_fixup_f32 v1, v2, v0, v1
	v_cndmask_b32_e32 v0, v14, v1, vcc_lo
	s_delay_alu instid0(VALU_DEP_1)
	v_cvt_f16_f32_e32 v0, v0
	global_store_b16 v[4:5], v0, off
.LBB10_40:
	s_endpgm
	.section	.rodata,"a",@progbits
	.p2align	6, 0x0
	.amdhsa_kernel _ZL9cpy_f32_qIXadL_ZL19cpy_blck_f32_iq4_nlPKcPcEELi32EEvS1_S2_lllllllllllllll
		.amdhsa_group_segment_fixed_size 0
		.amdhsa_private_segment_fixed_size 0
		.amdhsa_kernarg_size 392
		.amdhsa_user_sgpr_count 2
		.amdhsa_user_sgpr_dispatch_ptr 0
		.amdhsa_user_sgpr_queue_ptr 0
		.amdhsa_user_sgpr_kernarg_segment_ptr 1
		.amdhsa_user_sgpr_dispatch_id 0
		.amdhsa_user_sgpr_kernarg_preload_length 0
		.amdhsa_user_sgpr_kernarg_preload_offset 0
		.amdhsa_user_sgpr_private_segment_size 0
		.amdhsa_wavefront_size32 1
		.amdhsa_uses_dynamic_stack 0
		.amdhsa_enable_private_segment 0
		.amdhsa_system_sgpr_workgroup_id_x 1
		.amdhsa_system_sgpr_workgroup_id_y 0
		.amdhsa_system_sgpr_workgroup_id_z 0
		.amdhsa_system_sgpr_workgroup_info 0
		.amdhsa_system_vgpr_workitem_id 0
		.amdhsa_next_free_vgpr 48
		.amdhsa_next_free_sgpr 52
		.amdhsa_named_barrier_count 0
		.amdhsa_reserve_vcc 1
		.amdhsa_float_round_mode_32 0
		.amdhsa_float_round_mode_16_64 0
		.amdhsa_float_denorm_mode_32 3
		.amdhsa_float_denorm_mode_16_64 3
		.amdhsa_fp16_overflow 0
		.amdhsa_memory_ordered 1
		.amdhsa_forward_progress 1
		.amdhsa_inst_pref_size 56
		.amdhsa_round_robin_scheduling 0
		.amdhsa_exception_fp_ieee_invalid_op 0
		.amdhsa_exception_fp_denorm_src 0
		.amdhsa_exception_fp_ieee_div_zero 0
		.amdhsa_exception_fp_ieee_overflow 0
		.amdhsa_exception_fp_ieee_underflow 0
		.amdhsa_exception_fp_ieee_inexact 0
		.amdhsa_exception_int_div_zero 0
	.end_amdhsa_kernel
	.section	.text._ZL9cpy_f32_qIXadL_ZL19cpy_blck_f32_iq4_nlPKcPcEELi32EEvS1_S2_lllllllllllllll,"axG",@progbits,_ZL9cpy_f32_qIXadL_ZL19cpy_blck_f32_iq4_nlPKcPcEELi32EEvS1_S2_lllllllllllllll,comdat
.Lfunc_end10:
	.size	_ZL9cpy_f32_qIXadL_ZL19cpy_blck_f32_iq4_nlPKcPcEELi32EEvS1_S2_lllllllllllllll, .Lfunc_end10-_ZL9cpy_f32_qIXadL_ZL19cpy_blck_f32_iq4_nlPKcPcEELi32EEvS1_S2_lllllllllllllll
                                        ; -- End function
	.set _ZL9cpy_f32_qIXadL_ZL19cpy_blck_f32_iq4_nlPKcPcEELi32EEvS1_S2_lllllllllllllll.num_vgpr, 48
	.set _ZL9cpy_f32_qIXadL_ZL19cpy_blck_f32_iq4_nlPKcPcEELi32EEvS1_S2_lllllllllllllll.num_agpr, 0
	.set _ZL9cpy_f32_qIXadL_ZL19cpy_blck_f32_iq4_nlPKcPcEELi32EEvS1_S2_lllllllllllllll.numbered_sgpr, 52
	.set _ZL9cpy_f32_qIXadL_ZL19cpy_blck_f32_iq4_nlPKcPcEELi32EEvS1_S2_lllllllllllllll.num_named_barrier, 0
	.set _ZL9cpy_f32_qIXadL_ZL19cpy_blck_f32_iq4_nlPKcPcEELi32EEvS1_S2_lllllllllllllll.private_seg_size, 0
	.set _ZL9cpy_f32_qIXadL_ZL19cpy_blck_f32_iq4_nlPKcPcEELi32EEvS1_S2_lllllllllllllll.uses_vcc, 1
	.set _ZL9cpy_f32_qIXadL_ZL19cpy_blck_f32_iq4_nlPKcPcEELi32EEvS1_S2_lllllllllllllll.uses_flat_scratch, 0
	.set _ZL9cpy_f32_qIXadL_ZL19cpy_blck_f32_iq4_nlPKcPcEELi32EEvS1_S2_lllllllllllllll.has_dyn_sized_stack, 0
	.set _ZL9cpy_f32_qIXadL_ZL19cpy_blck_f32_iq4_nlPKcPcEELi32EEvS1_S2_lllllllllllllll.has_recursion, 0
	.set _ZL9cpy_f32_qIXadL_ZL19cpy_blck_f32_iq4_nlPKcPcEELi32EEvS1_S2_lllllllllllllll.has_indirect_call, 0
	.section	.AMDGPU.csdata,"",@progbits
; Kernel info:
; codeLenInByte = 7072
; TotalNumSgprs: 54
; NumVgprs: 48
; ScratchSize: 0
; MemoryBound: 0
; FloatMode: 240
; IeeeMode: 1
; LDSByteSize: 0 bytes/workgroup (compile time only)
; SGPRBlocks: 0
; VGPRBlocks: 2
; NumSGPRsForWavesPerEU: 54
; NumVGPRsForWavesPerEU: 48
; NamedBarCnt: 0
; Occupancy: 16
; WaveLimiterHint : 0
; COMPUTE_PGM_RSRC2:SCRATCH_EN: 0
; COMPUTE_PGM_RSRC2:USER_SGPR: 2
; COMPUTE_PGM_RSRC2:TRAP_HANDLER: 0
; COMPUTE_PGM_RSRC2:TGID_X_EN: 1
; COMPUTE_PGM_RSRC2:TGID_Y_EN: 0
; COMPUTE_PGM_RSRC2:TGID_Z_EN: 0
; COMPUTE_PGM_RSRC2:TIDIG_COMP_CNT: 0
	.section	.text._ZL20cpy_scalar_transposeIfEvPKcPclllllllllllllll,"axG",@progbits,_ZL20cpy_scalar_transposeIfEvPKcPclllllllllllllll,comdat
	.globl	_ZL20cpy_scalar_transposeIfEvPKcPclllllllllllllll ; -- Begin function _ZL20cpy_scalar_transposeIfEvPKcPclllllllllllllll
	.p2align	8
	.type	_ZL20cpy_scalar_transposeIfEvPKcPclllllllllllllll,@function
_ZL20cpy_scalar_transposeIfEvPKcPclllllllllllllll: ; @_ZL20cpy_scalar_transposeIfEvPKcPclllllllllllllll
; %bb.0:
	s_clause 0x1
	s_load_b256 s[4:11], s[0:1], 0x0
	s_load_b64 s[12:13], s[0:1], 0x20
	s_wait_kmcnt 0x0
	s_mul_u64 s[14:15], s[12:13], s[10:11]
	s_delay_alu instid0(SALU_CYCLE_1) | instskip(NEXT) | instid1(SALU_CYCLE_1)
	s_or_b64 s[0:1], s[8:9], s[14:15]
	s_and_b64 s[0:1], s[0:1], 0xffffffff00000000
	s_delay_alu instid0(SALU_CYCLE_1)
	s_cmp_lg_u64 s[0:1], 0
	s_cbranch_scc0 .LBB11_127
; %bb.1:
	s_ashr_i32 s0, s15, 31
	s_delay_alu instid0(SALU_CYCLE_1) | instskip(NEXT) | instid1(SALU_CYCLE_1)
	s_mov_b32 s1, s0
	s_add_nc_u64 s[2:3], s[14:15], s[0:1]
	s_delay_alu instid0(SALU_CYCLE_1) | instskip(NEXT) | instid1(SALU_CYCLE_1)
	s_xor_b64 s[16:17], s[2:3], s[0:1]
	s_cvt_f32_u32 s2, s16
	s_cvt_f32_u32 s3, s17
	s_sub_nc_u64 s[20:21], 0, s[16:17]
	s_delay_alu instid0(SALU_CYCLE_2) | instskip(NEXT) | instid1(SALU_CYCLE_3)
	s_fmamk_f32 s2, s3, 0x4f800000, s2
	v_s_rcp_f32 s2, s2
	s_delay_alu instid0(TRANS32_DEP_1) | instskip(NEXT) | instid1(SALU_CYCLE_3)
	s_mul_f32 s2, s2, 0x5f7ffffc
	s_mul_f32 s3, s2, 0x2f800000
	s_delay_alu instid0(SALU_CYCLE_3) | instskip(NEXT) | instid1(SALU_CYCLE_3)
	s_trunc_f32 s3, s3
	s_fmamk_f32 s2, s3, 0xcf800000, s2
	s_cvt_u32_f32 s19, s3
	s_mov_b32 s3, 0
	s_delay_alu instid0(SALU_CYCLE_1) | instskip(NEXT) | instid1(SALU_CYCLE_3)
	s_cvt_u32_f32 s18, s2
	s_mul_u64 s[22:23], s[20:21], s[18:19]
	s_delay_alu instid0(SALU_CYCLE_1)
	s_mul_hi_u32 s25, s18, s23
	s_mul_i32 s24, s18, s23
	s_mul_hi_u32 s2, s18, s22
	s_mul_i32 s27, s19, s22
	s_add_nc_u64 s[24:25], s[2:3], s[24:25]
	s_mul_hi_u32 s26, s19, s22
	s_mul_hi_u32 s28, s19, s23
	s_add_co_u32 s2, s24, s27
	s_add_co_ci_u32 s2, s25, s26
	s_mul_i32 s22, s19, s23
	s_add_co_ci_u32 s23, s28, 0
	s_delay_alu instid0(SALU_CYCLE_1) | instskip(NEXT) | instid1(SALU_CYCLE_1)
	s_add_nc_u64 s[22:23], s[2:3], s[22:23]
	s_add_co_u32 s18, s18, s22
	s_cselect_b32 s2, -1, 0
	s_delay_alu instid0(SALU_CYCLE_1) | instskip(SKIP_1) | instid1(SALU_CYCLE_1)
	s_cmp_lg_u32 s2, 0
	s_add_co_ci_u32 s19, s19, s23
	s_mul_u64 s[20:21], s[20:21], s[18:19]
	s_delay_alu instid0(SALU_CYCLE_1)
	s_mul_hi_u32 s23, s18, s21
	s_mul_i32 s22, s18, s21
	s_mul_hi_u32 s2, s18, s20
	s_mul_i32 s25, s19, s20
	s_add_nc_u64 s[22:23], s[2:3], s[22:23]
	s_mul_hi_u32 s24, s19, s20
	s_mul_hi_u32 s26, s19, s21
	s_add_co_u32 s2, s22, s25
	s_add_co_ci_u32 s2, s23, s24
	s_mul_i32 s20, s19, s21
	s_add_co_ci_u32 s21, s26, 0
	s_delay_alu instid0(SALU_CYCLE_1) | instskip(NEXT) | instid1(SALU_CYCLE_1)
	s_add_nc_u64 s[20:21], s[2:3], s[20:21]
	s_add_co_u32 s24, s18, s20
	s_cselect_b32 s2, -1, 0
	s_delay_alu instid0(SALU_CYCLE_1) | instskip(SKIP_2) | instid1(SALU_CYCLE_1)
	s_cmp_lg_u32 s2, 0
	s_add_co_ci_u32 s25, s19, s21
	s_ashr_i32 s18, s9, 31
	s_mov_b32 s19, s18
	s_delay_alu instid0(SALU_CYCLE_1) | instskip(NEXT) | instid1(SALU_CYCLE_1)
	s_add_nc_u64 s[20:21], s[8:9], s[18:19]
	s_xor_b64 s[20:21], s[20:21], s[18:19]
	s_delay_alu instid0(SALU_CYCLE_1)
	s_mul_hi_u32 s23, s20, s25
	s_mul_i32 s22, s20, s25
	s_mul_hi_u32 s2, s20, s24
	s_mul_i32 s27, s21, s24
	s_add_nc_u64 s[22:23], s[2:3], s[22:23]
	s_mul_hi_u32 s26, s21, s24
	s_mul_hi_u32 s9, s21, s25
	s_add_co_u32 s2, s22, s27
	s_add_co_ci_u32 s2, s23, s26
	s_mul_i32 s24, s21, s25
	s_add_co_ci_u32 s25, s9, 0
	s_delay_alu instid0(SALU_CYCLE_1) | instskip(NEXT) | instid1(SALU_CYCLE_1)
	s_add_nc_u64 s[22:23], s[2:3], s[24:25]
	s_and_b64 s[24:25], s[22:23], 0xffffffff00000000
	s_delay_alu instid0(SALU_CYCLE_1) | instskip(NEXT) | instid1(SALU_CYCLE_1)
	s_or_b32 s24, s24, s22
	s_mul_u64 s[22:23], s[16:17], s[24:25]
	s_delay_alu instid0(SALU_CYCLE_1)
	s_sub_co_u32 s2, s20, s22
	s_cselect_b32 s9, -1, 0
	s_sub_co_i32 s20, s21, s23
	s_cmp_lg_u32 s9, 0
	s_sub_co_ci_u32 s20, s20, s17
	s_sub_co_u32 s22, s2, s16
	s_cselect_b32 s26, -1, 0
	s_delay_alu instid0(SALU_CYCLE_1) | instskip(SKIP_2) | instid1(SALU_CYCLE_1)
	s_cmp_lg_u32 s26, 0
	s_add_nc_u64 s[26:27], s[24:25], 1
	s_sub_co_ci_u32 s20, s20, 0
	s_cmp_ge_u32 s20, s17
	s_cselect_b32 s28, -1, 0
	s_cmp_ge_u32 s22, s16
	s_cselect_b32 s22, -1, 0
	s_cmp_eq_u32 s20, s17
	s_cselect_b32 s20, s22, s28
	s_add_nc_u64 s[28:29], s[24:25], 2
	s_cmp_lg_u32 s20, 0
	s_cselect_b32 s20, s28, s26
	s_cselect_b32 s22, s29, s27
	s_cmp_lg_u32 s9, 0
	s_sub_co_ci_u32 s9, s21, s23
	s_delay_alu instid0(SALU_CYCLE_1)
	s_cmp_ge_u32 s9, s17
	s_cselect_b32 s21, -1, 0
	s_cmp_ge_u32 s2, s16
	s_cselect_b32 s2, -1, 0
	s_cmp_eq_u32 s9, s17
	s_cselect_b32 s2, s2, s21
	s_delay_alu instid0(SALU_CYCLE_1) | instskip(SKIP_3) | instid1(SALU_CYCLE_1)
	s_cmp_lg_u32 s2, 0
	s_cselect_b32 s17, s22, s25
	s_cselect_b32 s16, s20, s24
	s_xor_b64 s[0:1], s[18:19], s[0:1]
	s_xor_b64 s[16:17], s[16:17], s[0:1]
	s_delay_alu instid0(SALU_CYCLE_1)
	s_sub_nc_u64 s[16:17], s[16:17], s[0:1]
	s_cbranch_execnz .LBB11_3
.LBB11_2:
	v_cvt_f32_u32_e32 v1, s14
	s_sub_co_i32 s1, 0, s14
	s_mov_b32 s17, 0
	s_delay_alu instid0(VALU_DEP_1) | instskip(SKIP_1) | instid1(TRANS32_DEP_1)
	v_rcp_iflag_f32_e32 v1, v1
	v_nop
	v_mul_f32_e32 v1, 0x4f7ffffe, v1
	s_delay_alu instid0(VALU_DEP_1) | instskip(NEXT) | instid1(VALU_DEP_1)
	v_cvt_u32_f32_e32 v1, v1
	v_readfirstlane_b32 s0, v1
	s_mul_i32 s1, s1, s0
	s_delay_alu instid0(SALU_CYCLE_1) | instskip(NEXT) | instid1(SALU_CYCLE_1)
	s_mul_hi_u32 s1, s0, s1
	s_add_co_i32 s0, s0, s1
	s_delay_alu instid0(SALU_CYCLE_1) | instskip(NEXT) | instid1(SALU_CYCLE_1)
	s_mul_hi_u32 s0, s8, s0
	s_mul_i32 s1, s0, s14
	s_add_co_i32 s2, s0, 1
	s_sub_co_i32 s1, s8, s1
	s_delay_alu instid0(SALU_CYCLE_1)
	s_sub_co_i32 s3, s1, s14
	s_cmp_ge_u32 s1, s14
	s_cselect_b32 s0, s2, s0
	s_cselect_b32 s1, s3, s1
	s_add_co_i32 s2, s0, 1
	s_cmp_ge_u32 s1, s14
	s_cselect_b32 s16, s2, s0
.LBB11_3:
	s_bfe_u32 s0, ttmp6, 0x40014
	s_lshr_b32 s1, ttmp7, 16
	s_add_co_i32 s0, s0, 1
	s_bfe_u32 s3, ttmp6, 0x40008
	s_mul_i32 s2, s1, s0
	s_getreg_b32 s0, hwreg(HW_REG_IB_STS2, 6, 4)
	s_add_co_i32 s3, s3, s2
	s_cmp_eq_u32 s0, 0
	s_mov_b32 s9, 0
	s_cselect_b32 s1, s1, s3
	s_delay_alu instid0(SALU_CYCLE_1) | instskip(NEXT) | instid1(SALU_CYCLE_1)
	s_lshl_b32 s8, s1, 3
	v_cmp_le_i64_e64 s1, s[16:17], s[8:9]
	s_and_b32 vcc_lo, exec_lo, s1
	s_cbranch_vccnz .LBB11_126
; %bb.4:
	s_bfe_u32 s1, ttmp6, 0x4000c
	s_bfe_u32 s3, ttmp6, 0x40010
	s_add_co_i32 s1, s1, 1
	s_and_b32 s18, ttmp7, 0xffff
	s_add_co_i32 s3, s3, 1
	s_and_b32 s2, ttmp6, 15
	s_mul_i32 s1, ttmp9, s1
	s_mul_i32 s3, s18, s3
	s_bfe_u32 s19, ttmp6, 0x40004
	s_add_co_i32 s2, s2, s1
	s_add_co_i32 s19, s19, s3
	s_cmp_eq_u32 s0, 0
	v_and_b32_e32 v10, 0x3ff, v0
	s_cselect_b32 s0, ttmp9, s2
	s_cselect_b32 s2, s18, s19
	s_lshl_b32 s1, s0, 5
	v_bfe_u32 v8, v0, 10, 10
	v_dual_add_nc_u32 v2, s1, v10 :: v_dual_lshlrev_b32 v1, 2, v10
	s_lshl_b32 s2, s2, 5
	s_delay_alu instid0(VALU_DEP_1) | instid1(SALU_CYCLE_1)
	v_dual_add_nc_u32 v0, s2, v8 :: v_dual_ashrrev_i32 v3, 31, v2
	s_delay_alu instid0(VALU_DEP_2) | instskip(NEXT) | instid1(VALU_DEP_2)
	v_mad_u32_u24 v18, 0x84, v8, v1
	v_cmp_gt_i64_e64 s0, s[12:13], v[2:3]
	v_lshl_add_u64 v[2:3], v[2:3], 2, s[4:5]
	s_mul_u64 s[4:5], s[14:15], s[8:9]
	s_and_saveexec_b32 s3, s0
	s_cbranch_execz .LBB11_13
; %bb.5:
	v_ashrrev_i32_e32 v1, 31, v0
	v_lshl_add_u64 v[4:5], s[4:5], 2, v[2:3]
	s_mov_b32 s9, exec_lo
	s_delay_alu instid0(VALU_DEP_2)
	v_cmpx_gt_i64_e64 s[10:11], v[0:1]
	s_cbranch_execz .LBB11_7
; %bb.6:
	v_mul_u64_e32 v[6:7], s[12:13], v[0:1]
	s_delay_alu instid0(VALU_DEP_1)
	v_lshl_add_u64 v[6:7], v[6:7], 2, v[4:5]
	global_load_b32 v1, v[6:7], off
	s_wait_loadcnt 0x0
	ds_store_b32 v18, v1
.LBB11_7:
	s_or_b32 exec_lo, exec_lo, s9
	v_add_nc_u32_e32 v6, 8, v0
	s_mov_b32 s9, exec_lo
	s_delay_alu instid0(VALU_DEP_1) | instskip(NEXT) | instid1(VALU_DEP_1)
	v_ashrrev_i32_e32 v7, 31, v6
	v_cmpx_gt_i64_e64 s[10:11], v[6:7]
	s_cbranch_execz .LBB11_9
; %bb.8:
	v_mul_u64_e32 v[6:7], s[12:13], v[6:7]
	s_delay_alu instid0(VALU_DEP_1)
	v_lshl_add_u64 v[6:7], v[6:7], 2, v[4:5]
	global_load_b32 v1, v[6:7], off
	s_wait_loadcnt 0x0
	ds_store_b32 v18, v1 offset:1056
.LBB11_9:
	s_or_b32 exec_lo, exec_lo, s9
	v_add_nc_u32_e32 v6, 16, v0
	s_mov_b32 s9, exec_lo
	s_delay_alu instid0(VALU_DEP_1) | instskip(NEXT) | instid1(VALU_DEP_1)
	v_ashrrev_i32_e32 v7, 31, v6
	v_cmpx_gt_i64_e64 s[10:11], v[6:7]
	s_cbranch_execz .LBB11_11
; %bb.10:
	v_mul_u64_e32 v[6:7], s[12:13], v[6:7]
	s_delay_alu instid0(VALU_DEP_1)
	v_lshl_add_u64 v[6:7], v[6:7], 2, v[4:5]
	global_load_b32 v1, v[6:7], off
	s_wait_loadcnt 0x0
	ds_store_b32 v18, v1 offset:2112
.LBB11_11:
	s_or_b32 exec_lo, exec_lo, s9
	v_add_nc_u32_e32 v6, 24, v0
	s_delay_alu instid0(VALU_DEP_1) | instskip(NEXT) | instid1(VALU_DEP_1)
	v_ashrrev_i32_e32 v7, 31, v6
	v_cmp_gt_i64_e32 vcc_lo, s[10:11], v[6:7]
	s_and_b32 exec_lo, exec_lo, vcc_lo
	s_cbranch_execz .LBB11_13
; %bb.12:
	v_mul_u64_e32 v[6:7], s[12:13], v[6:7]
	s_delay_alu instid0(VALU_DEP_1)
	v_lshl_add_u64 v[4:5], v[6:7], 2, v[4:5]
	global_load_b32 v1, v[4:5], off
	s_wait_loadcnt 0x0
	ds_store_b32 v18, v1 offset:3168
.LBB11_13:
	s_or_b32 exec_lo, exec_lo, s3
	v_dual_mov_b32 v7, 0 :: v_dual_add_nc_u32 v6, s2, v10
	v_dual_add_nc_u32 v4, s1, v8 :: v_dual_lshlrev_b32 v1, 2, v8
	s_wait_dscnt 0x0
	s_barrier_signal -1
	s_delay_alu instid0(VALU_DEP_2) | instskip(SKIP_4) | instid1(VALU_DEP_2)
	v_cmp_le_i64_e32 vcc_lo, s[10:11], v[6:7]
	v_cmp_gt_i64_e64 s1, s[10:11], v[6:7]
	v_dual_lshlrev_b32 v6, 2, v6 :: v_dual_ashrrev_i32 v5, 31, v4
	v_mad_u32_u24 v19, 0x84, v10, v1
	s_barrier_wait -1
	v_add_nc_u64_e32 v[8:9], s[6:7], v[6:7]
	s_delay_alu instid0(VALU_DEP_3) | instskip(NEXT) | instid1(VALU_DEP_2)
	v_cmp_gt_i64_e64 s2, s[12:13], v[4:5]
	v_lshl_add_u64 v[14:15], s[4:5], 2, v[8:9]
	s_and_b32 s4, s2, s1
	s_delay_alu instid0(SALU_CYCLE_1)
	s_and_saveexec_b32 s1, s4
	s_cbranch_execz .LBB11_15
; %bb.14:
	v_mul_u64_e32 v[6:7], s[10:11], v[4:5]
	ds_load_b32 v1, v19
	v_lshl_add_u64 v[6:7], v[6:7], 2, v[14:15]
	s_wait_dscnt 0x0
	global_store_b32 v[6:7], v1, off
.LBB11_15:
	s_wait_xcnt 0x0
	s_or_b32 exec_lo, exec_lo, s1
	v_add_nc_u32_e32 v6, 8, v4
	s_xor_b32 s2, vcc_lo, -1
	s_delay_alu instid0(VALU_DEP_1) | instskip(NEXT) | instid1(VALU_DEP_1)
	v_ashrrev_i32_e32 v7, 31, v6
	v_cmp_gt_i64_e64 s1, s[12:13], v[6:7]
	s_and_b32 s1, s1, s2
	s_delay_alu instid0(SALU_CYCLE_1)
	s_and_saveexec_b32 s3, s1
	s_cbranch_execz .LBB11_17
; %bb.16:
	v_mul_u64_e32 v[10:11], s[10:11], v[6:7]
	ds_load_b32 v1, v19 offset:32
	v_lshl_add_u64 v[10:11], v[10:11], 2, v[14:15]
	s_wait_dscnt 0x0
	global_store_b32 v[10:11], v1, off
.LBB11_17:
	s_wait_xcnt 0x0
	s_or_b32 exec_lo, exec_lo, s3
	v_add_nc_u32_e32 v10, 16, v4
	s_delay_alu instid0(VALU_DEP_1) | instskip(NEXT) | instid1(VALU_DEP_1)
	v_ashrrev_i32_e32 v11, 31, v10
	v_cmp_gt_i64_e32 vcc_lo, s[12:13], v[10:11]
	s_and_b32 s5, vcc_lo, s2
	s_delay_alu instid0(SALU_CYCLE_1)
	s_and_saveexec_b32 s3, s5
	s_cbranch_execz .LBB11_19
; %bb.18:
	v_mul_u64_e32 v[12:13], s[10:11], v[10:11]
	ds_load_b32 v1, v19 offset:64
	v_lshl_add_u64 v[12:13], v[12:13], 2, v[14:15]
	s_wait_dscnt 0x0
	global_store_b32 v[12:13], v1, off
.LBB11_19:
	s_wait_xcnt 0x0
	s_or_b32 exec_lo, exec_lo, s3
	v_add_nc_u32_e32 v12, 24, v4
	s_delay_alu instid0(VALU_DEP_1) | instskip(NEXT) | instid1(VALU_DEP_1)
	v_ashrrev_i32_e32 v13, 31, v12
	v_cmp_gt_i64_e32 vcc_lo, s[12:13], v[12:13]
	s_and_b32 s6, vcc_lo, s2
	s_delay_alu instid0(SALU_CYCLE_1)
	s_and_saveexec_b32 s2, s6
	s_cbranch_execz .LBB11_21
; %bb.20:
	v_mul_u64_e32 v[16:17], s[10:11], v[12:13]
	ds_load_b32 v1, v19 offset:96
	v_lshl_add_u64 v[14:15], v[16:17], 2, v[14:15]
	s_wait_dscnt 0x0
	global_store_b32 v[14:15], v1, off
.LBB11_21:
	s_wait_xcnt 0x0
	s_or_b32 exec_lo, exec_lo, s2
	s_or_b32 s2, s8, 1
	s_mov_b32 s3, 0
	s_delay_alu instid0(SALU_CYCLE_1)
	v_cmp_le_u64_e64 s7, s[16:17], s[2:3]
	s_and_b32 vcc_lo, exec_lo, s7
	s_cbranch_vccnz .LBB11_126
; %bb.22:
	s_mul_u64 s[2:3], s[14:15], s[2:3]
	s_and_saveexec_b32 s7, s0
	s_cbranch_execz .LBB11_31
; %bb.23:
	v_ashrrev_i32_e32 v1, 31, v0
	v_lshl_add_u64 v[14:15], s[2:3], 2, v[2:3]
	s_mov_b32 s9, exec_lo
	s_delay_alu instid0(VALU_DEP_2)
	v_cmpx_gt_i64_e64 s[10:11], v[0:1]
	s_cbranch_execz .LBB11_25
; %bb.24:
	v_mul_u64_e32 v[16:17], s[12:13], v[0:1]
	s_delay_alu instid0(VALU_DEP_1)
	v_lshl_add_u64 v[16:17], v[16:17], 2, v[14:15]
	global_load_b32 v1, v[16:17], off
	s_wait_loadcnt 0x0
	ds_store_b32 v18, v1 offset:4224
.LBB11_25:
	s_wait_xcnt 0x0
	s_or_b32 exec_lo, exec_lo, s9
	v_add_nc_u32_e32 v16, 8, v0
	s_mov_b32 s9, exec_lo
	s_delay_alu instid0(VALU_DEP_1) | instskip(NEXT) | instid1(VALU_DEP_1)
	v_ashrrev_i32_e32 v17, 31, v16
	v_cmpx_gt_i64_e64 s[10:11], v[16:17]
	s_cbranch_execz .LBB11_27
; %bb.26:
	v_mul_u64_e32 v[16:17], s[12:13], v[16:17]
	s_delay_alu instid0(VALU_DEP_1)
	v_lshl_add_u64 v[16:17], v[16:17], 2, v[14:15]
	global_load_b32 v1, v[16:17], off
	s_wait_loadcnt 0x0
	ds_store_b32 v18, v1 offset:5280
.LBB11_27:
	s_wait_xcnt 0x0
	s_or_b32 exec_lo, exec_lo, s9
	v_add_nc_u32_e32 v16, 16, v0
	s_mov_b32 s9, exec_lo
	s_delay_alu instid0(VALU_DEP_1) | instskip(NEXT) | instid1(VALU_DEP_1)
	v_ashrrev_i32_e32 v17, 31, v16
	v_cmpx_gt_i64_e64 s[10:11], v[16:17]
	s_cbranch_execz .LBB11_29
; %bb.28:
	v_mul_u64_e32 v[16:17], s[12:13], v[16:17]
	s_delay_alu instid0(VALU_DEP_1)
	v_lshl_add_u64 v[16:17], v[16:17], 2, v[14:15]
	global_load_b32 v1, v[16:17], off
	s_wait_loadcnt 0x0
	ds_store_b32 v18, v1 offset:6336
.LBB11_29:
	s_wait_xcnt 0x0
	s_or_b32 exec_lo, exec_lo, s9
	v_add_nc_u32_e32 v16, 24, v0
	s_delay_alu instid0(VALU_DEP_1) | instskip(NEXT) | instid1(VALU_DEP_1)
	v_ashrrev_i32_e32 v17, 31, v16
	v_cmp_gt_i64_e32 vcc_lo, s[10:11], v[16:17]
	s_and_b32 exec_lo, exec_lo, vcc_lo
	s_cbranch_execz .LBB11_31
; %bb.30:
	v_mul_u64_e32 v[16:17], s[12:13], v[16:17]
	s_delay_alu instid0(VALU_DEP_1)
	v_lshl_add_u64 v[14:15], v[16:17], 2, v[14:15]
	global_load_b32 v1, v[14:15], off
	s_wait_loadcnt 0x0
	ds_store_b32 v18, v1 offset:7392
.LBB11_31:
	s_wait_xcnt 0x0
	s_or_b32 exec_lo, exec_lo, s7
	v_lshl_add_u64 v[14:15], s[2:3], 2, v[8:9]
	s_wait_storecnt_dscnt 0x0
	s_barrier_signal -1
	s_barrier_wait -1
	s_and_saveexec_b32 s2, s4
	s_cbranch_execnz .LBB11_128
; %bb.32:
	s_or_b32 exec_lo, exec_lo, s2
	s_and_saveexec_b32 s2, s1
	s_cbranch_execnz .LBB11_129
.LBB11_33:
	s_or_b32 exec_lo, exec_lo, s2
	s_and_saveexec_b32 s2, s5
	s_cbranch_execnz .LBB11_130
.LBB11_34:
	s_or_b32 exec_lo, exec_lo, s2
	s_and_saveexec_b32 s2, s6
	s_cbranch_execz .LBB11_36
.LBB11_35:
	v_mul_u64_e32 v[16:17], s[10:11], v[12:13]
	ds_load_b32 v1, v19 offset:4320
	v_lshl_add_u64 v[14:15], v[16:17], 2, v[14:15]
	s_wait_dscnt 0x0
	global_store_b32 v[14:15], v1, off
.LBB11_36:
	s_wait_xcnt 0x0
	s_or_b32 exec_lo, exec_lo, s2
	s_or_b32 s2, s8, 2
	s_mov_b32 s3, 0
	s_delay_alu instid0(SALU_CYCLE_1)
	v_cmp_le_u64_e64 s7, s[16:17], s[2:3]
	s_and_b32 vcc_lo, exec_lo, s7
	s_cbranch_vccnz .LBB11_126
; %bb.37:
	s_mul_u64 s[2:3], s[14:15], s[2:3]
	s_and_saveexec_b32 s7, s0
	s_cbranch_execz .LBB11_46
; %bb.38:
	v_ashrrev_i32_e32 v1, 31, v0
	v_lshl_add_u64 v[14:15], s[2:3], 2, v[2:3]
	s_mov_b32 s9, exec_lo
	s_delay_alu instid0(VALU_DEP_2)
	v_cmpx_gt_i64_e64 s[10:11], v[0:1]
	s_cbranch_execz .LBB11_40
; %bb.39:
	v_mul_u64_e32 v[16:17], s[12:13], v[0:1]
	s_delay_alu instid0(VALU_DEP_1)
	v_lshl_add_u64 v[16:17], v[16:17], 2, v[14:15]
	global_load_b32 v1, v[16:17], off
	s_wait_loadcnt 0x0
	ds_store_b32 v18, v1
.LBB11_40:
	s_wait_xcnt 0x0
	s_or_b32 exec_lo, exec_lo, s9
	v_add_nc_u32_e32 v16, 8, v0
	s_mov_b32 s9, exec_lo
	s_delay_alu instid0(VALU_DEP_1) | instskip(NEXT) | instid1(VALU_DEP_1)
	v_ashrrev_i32_e32 v17, 31, v16
	v_cmpx_gt_i64_e64 s[10:11], v[16:17]
	s_cbranch_execz .LBB11_42
; %bb.41:
	v_mul_u64_e32 v[16:17], s[12:13], v[16:17]
	s_delay_alu instid0(VALU_DEP_1)
	v_lshl_add_u64 v[16:17], v[16:17], 2, v[14:15]
	global_load_b32 v1, v[16:17], off
	s_wait_loadcnt 0x0
	ds_store_b32 v18, v1 offset:1056
.LBB11_42:
	s_wait_xcnt 0x0
	s_or_b32 exec_lo, exec_lo, s9
	v_add_nc_u32_e32 v16, 16, v0
	s_mov_b32 s9, exec_lo
	s_delay_alu instid0(VALU_DEP_1) | instskip(NEXT) | instid1(VALU_DEP_1)
	v_ashrrev_i32_e32 v17, 31, v16
	v_cmpx_gt_i64_e64 s[10:11], v[16:17]
	s_cbranch_execz .LBB11_44
; %bb.43:
	v_mul_u64_e32 v[16:17], s[12:13], v[16:17]
	s_delay_alu instid0(VALU_DEP_1)
	v_lshl_add_u64 v[16:17], v[16:17], 2, v[14:15]
	global_load_b32 v1, v[16:17], off
	s_wait_loadcnt 0x0
	ds_store_b32 v18, v1 offset:2112
.LBB11_44:
	s_wait_xcnt 0x0
	s_or_b32 exec_lo, exec_lo, s9
	v_add_nc_u32_e32 v16, 24, v0
	s_delay_alu instid0(VALU_DEP_1) | instskip(NEXT) | instid1(VALU_DEP_1)
	v_ashrrev_i32_e32 v17, 31, v16
	v_cmp_gt_i64_e32 vcc_lo, s[10:11], v[16:17]
	s_and_b32 exec_lo, exec_lo, vcc_lo
	s_cbranch_execz .LBB11_46
; %bb.45:
	v_mul_u64_e32 v[16:17], s[12:13], v[16:17]
	s_delay_alu instid0(VALU_DEP_1)
	v_lshl_add_u64 v[14:15], v[16:17], 2, v[14:15]
	global_load_b32 v1, v[14:15], off
	s_wait_loadcnt 0x0
	ds_store_b32 v18, v1 offset:3168
.LBB11_46:
	s_wait_xcnt 0x0
	s_or_b32 exec_lo, exec_lo, s7
	v_lshl_add_u64 v[14:15], s[2:3], 2, v[8:9]
	s_wait_storecnt_dscnt 0x0
	s_barrier_signal -1
	s_barrier_wait -1
	s_and_saveexec_b32 s2, s4
	s_cbranch_execnz .LBB11_131
; %bb.47:
	s_or_b32 exec_lo, exec_lo, s2
	s_and_saveexec_b32 s2, s1
	s_cbranch_execnz .LBB11_132
.LBB11_48:
	s_or_b32 exec_lo, exec_lo, s2
	s_and_saveexec_b32 s2, s5
	s_cbranch_execnz .LBB11_133
.LBB11_49:
	s_or_b32 exec_lo, exec_lo, s2
	s_and_saveexec_b32 s2, s6
	s_cbranch_execz .LBB11_51
.LBB11_50:
	v_mul_u64_e32 v[16:17], s[10:11], v[12:13]
	ds_load_b32 v1, v19 offset:96
	v_lshl_add_u64 v[14:15], v[16:17], 2, v[14:15]
	s_wait_dscnt 0x0
	global_store_b32 v[14:15], v1, off
.LBB11_51:
	s_wait_xcnt 0x0
	s_or_b32 exec_lo, exec_lo, s2
	s_or_b32 s2, s8, 3
	s_mov_b32 s3, 0
	s_delay_alu instid0(SALU_CYCLE_1)
	v_cmp_le_u64_e64 s7, s[16:17], s[2:3]
	s_and_b32 vcc_lo, exec_lo, s7
	s_cbranch_vccnz .LBB11_126
; %bb.52:
	s_mul_u64 s[2:3], s[14:15], s[2:3]
	s_and_saveexec_b32 s7, s0
	s_cbranch_execz .LBB11_61
; %bb.53:
	v_ashrrev_i32_e32 v1, 31, v0
	v_lshl_add_u64 v[14:15], s[2:3], 2, v[2:3]
	s_mov_b32 s9, exec_lo
	s_delay_alu instid0(VALU_DEP_2)
	v_cmpx_gt_i64_e64 s[10:11], v[0:1]
	s_cbranch_execz .LBB11_55
; %bb.54:
	v_mul_u64_e32 v[16:17], s[12:13], v[0:1]
	s_delay_alu instid0(VALU_DEP_1)
	v_lshl_add_u64 v[16:17], v[16:17], 2, v[14:15]
	global_load_b32 v1, v[16:17], off
	s_wait_loadcnt 0x0
	ds_store_b32 v18, v1 offset:4224
.LBB11_55:
	s_wait_xcnt 0x0
	s_or_b32 exec_lo, exec_lo, s9
	v_add_nc_u32_e32 v16, 8, v0
	s_mov_b32 s9, exec_lo
	s_delay_alu instid0(VALU_DEP_1) | instskip(NEXT) | instid1(VALU_DEP_1)
	v_ashrrev_i32_e32 v17, 31, v16
	v_cmpx_gt_i64_e64 s[10:11], v[16:17]
	s_cbranch_execz .LBB11_57
; %bb.56:
	v_mul_u64_e32 v[16:17], s[12:13], v[16:17]
	s_delay_alu instid0(VALU_DEP_1)
	v_lshl_add_u64 v[16:17], v[16:17], 2, v[14:15]
	global_load_b32 v1, v[16:17], off
	s_wait_loadcnt 0x0
	ds_store_b32 v18, v1 offset:5280
.LBB11_57:
	s_wait_xcnt 0x0
	s_or_b32 exec_lo, exec_lo, s9
	v_add_nc_u32_e32 v16, 16, v0
	s_mov_b32 s9, exec_lo
	s_delay_alu instid0(VALU_DEP_1) | instskip(NEXT) | instid1(VALU_DEP_1)
	v_ashrrev_i32_e32 v17, 31, v16
	v_cmpx_gt_i64_e64 s[10:11], v[16:17]
	s_cbranch_execz .LBB11_59
; %bb.58:
	v_mul_u64_e32 v[16:17], s[12:13], v[16:17]
	s_delay_alu instid0(VALU_DEP_1)
	v_lshl_add_u64 v[16:17], v[16:17], 2, v[14:15]
	global_load_b32 v1, v[16:17], off
	s_wait_loadcnt 0x0
	ds_store_b32 v18, v1 offset:6336
.LBB11_59:
	s_wait_xcnt 0x0
	s_or_b32 exec_lo, exec_lo, s9
	v_add_nc_u32_e32 v16, 24, v0
	s_delay_alu instid0(VALU_DEP_1) | instskip(NEXT) | instid1(VALU_DEP_1)
	v_ashrrev_i32_e32 v17, 31, v16
	v_cmp_gt_i64_e32 vcc_lo, s[10:11], v[16:17]
	s_and_b32 exec_lo, exec_lo, vcc_lo
	s_cbranch_execz .LBB11_61
; %bb.60:
	v_mul_u64_e32 v[16:17], s[12:13], v[16:17]
	s_delay_alu instid0(VALU_DEP_1)
	v_lshl_add_u64 v[14:15], v[16:17], 2, v[14:15]
	global_load_b32 v1, v[14:15], off
	s_wait_loadcnt 0x0
	ds_store_b32 v18, v1 offset:7392
.LBB11_61:
	s_wait_xcnt 0x0
	s_or_b32 exec_lo, exec_lo, s7
	v_lshl_add_u64 v[14:15], s[2:3], 2, v[8:9]
	s_wait_storecnt_dscnt 0x0
	s_barrier_signal -1
	s_barrier_wait -1
	s_and_saveexec_b32 s2, s4
	s_cbranch_execnz .LBB11_134
; %bb.62:
	s_or_b32 exec_lo, exec_lo, s2
	s_and_saveexec_b32 s2, s1
	s_cbranch_execnz .LBB11_135
.LBB11_63:
	s_or_b32 exec_lo, exec_lo, s2
	s_and_saveexec_b32 s2, s5
	s_cbranch_execnz .LBB11_136
.LBB11_64:
	s_or_b32 exec_lo, exec_lo, s2
	s_and_saveexec_b32 s2, s6
	s_cbranch_execz .LBB11_66
.LBB11_65:
	v_mul_u64_e32 v[16:17], s[10:11], v[12:13]
	ds_load_b32 v1, v19 offset:4320
	v_lshl_add_u64 v[14:15], v[16:17], 2, v[14:15]
	s_wait_dscnt 0x0
	global_store_b32 v[14:15], v1, off
.LBB11_66:
	s_wait_xcnt 0x0
	s_or_b32 exec_lo, exec_lo, s2
	s_or_b32 s2, s8, 4
	s_mov_b32 s3, 0
	s_delay_alu instid0(SALU_CYCLE_1)
	v_cmp_le_u64_e64 s7, s[16:17], s[2:3]
	s_and_b32 vcc_lo, exec_lo, s7
	s_cbranch_vccnz .LBB11_126
; %bb.67:
	s_mul_u64 s[2:3], s[14:15], s[2:3]
	s_and_saveexec_b32 s7, s0
	s_cbranch_execz .LBB11_76
; %bb.68:
	v_ashrrev_i32_e32 v1, 31, v0
	v_lshl_add_u64 v[14:15], s[2:3], 2, v[2:3]
	s_mov_b32 s9, exec_lo
	s_delay_alu instid0(VALU_DEP_2)
	v_cmpx_gt_i64_e64 s[10:11], v[0:1]
	s_cbranch_execz .LBB11_70
; %bb.69:
	v_mul_u64_e32 v[16:17], s[12:13], v[0:1]
	s_delay_alu instid0(VALU_DEP_1)
	v_lshl_add_u64 v[16:17], v[16:17], 2, v[14:15]
	global_load_b32 v1, v[16:17], off
	s_wait_loadcnt 0x0
	ds_store_b32 v18, v1
.LBB11_70:
	s_wait_xcnt 0x0
	s_or_b32 exec_lo, exec_lo, s9
	v_add_nc_u32_e32 v16, 8, v0
	s_mov_b32 s9, exec_lo
	s_delay_alu instid0(VALU_DEP_1) | instskip(NEXT) | instid1(VALU_DEP_1)
	v_ashrrev_i32_e32 v17, 31, v16
	v_cmpx_gt_i64_e64 s[10:11], v[16:17]
	s_cbranch_execz .LBB11_72
; %bb.71:
	v_mul_u64_e32 v[16:17], s[12:13], v[16:17]
	s_delay_alu instid0(VALU_DEP_1)
	v_lshl_add_u64 v[16:17], v[16:17], 2, v[14:15]
	global_load_b32 v1, v[16:17], off
	s_wait_loadcnt 0x0
	ds_store_b32 v18, v1 offset:1056
.LBB11_72:
	s_wait_xcnt 0x0
	s_or_b32 exec_lo, exec_lo, s9
	v_add_nc_u32_e32 v16, 16, v0
	s_mov_b32 s9, exec_lo
	s_delay_alu instid0(VALU_DEP_1) | instskip(NEXT) | instid1(VALU_DEP_1)
	v_ashrrev_i32_e32 v17, 31, v16
	v_cmpx_gt_i64_e64 s[10:11], v[16:17]
	s_cbranch_execz .LBB11_74
; %bb.73:
	v_mul_u64_e32 v[16:17], s[12:13], v[16:17]
	s_delay_alu instid0(VALU_DEP_1)
	v_lshl_add_u64 v[16:17], v[16:17], 2, v[14:15]
	global_load_b32 v1, v[16:17], off
	s_wait_loadcnt 0x0
	ds_store_b32 v18, v1 offset:2112
.LBB11_74:
	s_wait_xcnt 0x0
	s_or_b32 exec_lo, exec_lo, s9
	v_add_nc_u32_e32 v16, 24, v0
	s_delay_alu instid0(VALU_DEP_1) | instskip(NEXT) | instid1(VALU_DEP_1)
	v_ashrrev_i32_e32 v17, 31, v16
	v_cmp_gt_i64_e32 vcc_lo, s[10:11], v[16:17]
	s_and_b32 exec_lo, exec_lo, vcc_lo
	s_cbranch_execz .LBB11_76
; %bb.75:
	v_mul_u64_e32 v[16:17], s[12:13], v[16:17]
	s_delay_alu instid0(VALU_DEP_1)
	v_lshl_add_u64 v[14:15], v[16:17], 2, v[14:15]
	global_load_b32 v1, v[14:15], off
	s_wait_loadcnt 0x0
	ds_store_b32 v18, v1 offset:3168
.LBB11_76:
	s_wait_xcnt 0x0
	s_or_b32 exec_lo, exec_lo, s7
	v_lshl_add_u64 v[14:15], s[2:3], 2, v[8:9]
	s_wait_storecnt_dscnt 0x0
	s_barrier_signal -1
	s_barrier_wait -1
	s_and_saveexec_b32 s2, s4
	s_cbranch_execnz .LBB11_137
; %bb.77:
	s_or_b32 exec_lo, exec_lo, s2
	s_and_saveexec_b32 s2, s1
	s_cbranch_execnz .LBB11_138
.LBB11_78:
	s_or_b32 exec_lo, exec_lo, s2
	s_and_saveexec_b32 s2, s5
	s_cbranch_execnz .LBB11_139
.LBB11_79:
	s_or_b32 exec_lo, exec_lo, s2
	s_and_saveexec_b32 s2, s6
	s_cbranch_execz .LBB11_81
.LBB11_80:
	v_mul_u64_e32 v[16:17], s[10:11], v[12:13]
	ds_load_b32 v1, v19 offset:96
	v_lshl_add_u64 v[14:15], v[16:17], 2, v[14:15]
	s_wait_dscnt 0x0
	global_store_b32 v[14:15], v1, off
.LBB11_81:
	s_wait_xcnt 0x0
	s_or_b32 exec_lo, exec_lo, s2
	s_or_b32 s2, s8, 5
	s_mov_b32 s3, 0
	s_delay_alu instid0(SALU_CYCLE_1)
	v_cmp_le_u64_e64 s7, s[16:17], s[2:3]
	s_and_b32 vcc_lo, exec_lo, s7
	s_cbranch_vccnz .LBB11_126
; %bb.82:
	s_mul_u64 s[2:3], s[14:15], s[2:3]
	s_and_saveexec_b32 s7, s0
	s_cbranch_execz .LBB11_91
; %bb.83:
	v_ashrrev_i32_e32 v1, 31, v0
	v_lshl_add_u64 v[14:15], s[2:3], 2, v[2:3]
	s_mov_b32 s9, exec_lo
	s_delay_alu instid0(VALU_DEP_2)
	v_cmpx_gt_i64_e64 s[10:11], v[0:1]
	s_cbranch_execz .LBB11_85
; %bb.84:
	v_mul_u64_e32 v[16:17], s[12:13], v[0:1]
	s_delay_alu instid0(VALU_DEP_1)
	v_lshl_add_u64 v[16:17], v[16:17], 2, v[14:15]
	global_load_b32 v1, v[16:17], off
	s_wait_loadcnt 0x0
	ds_store_b32 v18, v1 offset:4224
.LBB11_85:
	s_wait_xcnt 0x0
	s_or_b32 exec_lo, exec_lo, s9
	v_add_nc_u32_e32 v16, 8, v0
	s_mov_b32 s9, exec_lo
	s_delay_alu instid0(VALU_DEP_1) | instskip(NEXT) | instid1(VALU_DEP_1)
	v_ashrrev_i32_e32 v17, 31, v16
	v_cmpx_gt_i64_e64 s[10:11], v[16:17]
	s_cbranch_execz .LBB11_87
; %bb.86:
	v_mul_u64_e32 v[16:17], s[12:13], v[16:17]
	s_delay_alu instid0(VALU_DEP_1)
	v_lshl_add_u64 v[16:17], v[16:17], 2, v[14:15]
	global_load_b32 v1, v[16:17], off
	s_wait_loadcnt 0x0
	ds_store_b32 v18, v1 offset:5280
.LBB11_87:
	s_wait_xcnt 0x0
	s_or_b32 exec_lo, exec_lo, s9
	v_add_nc_u32_e32 v16, 16, v0
	s_mov_b32 s9, exec_lo
	s_delay_alu instid0(VALU_DEP_1) | instskip(NEXT) | instid1(VALU_DEP_1)
	v_ashrrev_i32_e32 v17, 31, v16
	v_cmpx_gt_i64_e64 s[10:11], v[16:17]
	s_cbranch_execz .LBB11_89
; %bb.88:
	v_mul_u64_e32 v[16:17], s[12:13], v[16:17]
	s_delay_alu instid0(VALU_DEP_1)
	v_lshl_add_u64 v[16:17], v[16:17], 2, v[14:15]
	global_load_b32 v1, v[16:17], off
	s_wait_loadcnt 0x0
	ds_store_b32 v18, v1 offset:6336
.LBB11_89:
	s_wait_xcnt 0x0
	s_or_b32 exec_lo, exec_lo, s9
	v_add_nc_u32_e32 v16, 24, v0
	s_delay_alu instid0(VALU_DEP_1) | instskip(NEXT) | instid1(VALU_DEP_1)
	v_ashrrev_i32_e32 v17, 31, v16
	v_cmp_gt_i64_e32 vcc_lo, s[10:11], v[16:17]
	s_and_b32 exec_lo, exec_lo, vcc_lo
	s_cbranch_execz .LBB11_91
; %bb.90:
	v_mul_u64_e32 v[16:17], s[12:13], v[16:17]
	s_delay_alu instid0(VALU_DEP_1)
	v_lshl_add_u64 v[14:15], v[16:17], 2, v[14:15]
	global_load_b32 v1, v[14:15], off
	s_wait_loadcnt 0x0
	ds_store_b32 v18, v1 offset:7392
.LBB11_91:
	s_wait_xcnt 0x0
	s_or_b32 exec_lo, exec_lo, s7
	v_lshl_add_u64 v[14:15], s[2:3], 2, v[8:9]
	s_wait_storecnt_dscnt 0x0
	s_barrier_signal -1
	s_barrier_wait -1
	s_and_saveexec_b32 s2, s4
	s_cbranch_execnz .LBB11_140
; %bb.92:
	s_or_b32 exec_lo, exec_lo, s2
	s_and_saveexec_b32 s2, s1
	s_cbranch_execnz .LBB11_141
.LBB11_93:
	s_or_b32 exec_lo, exec_lo, s2
	s_and_saveexec_b32 s2, s5
	s_cbranch_execnz .LBB11_142
.LBB11_94:
	s_or_b32 exec_lo, exec_lo, s2
	s_and_saveexec_b32 s2, s6
	s_cbranch_execz .LBB11_96
.LBB11_95:
	v_mul_u64_e32 v[16:17], s[10:11], v[12:13]
	ds_load_b32 v1, v19 offset:4320
	v_lshl_add_u64 v[14:15], v[16:17], 2, v[14:15]
	s_wait_dscnt 0x0
	global_store_b32 v[14:15], v1, off
.LBB11_96:
	s_wait_xcnt 0x0
	s_or_b32 exec_lo, exec_lo, s2
	s_or_b32 s2, s8, 6
	s_mov_b32 s3, 0
	s_delay_alu instid0(SALU_CYCLE_1)
	v_cmp_le_u64_e64 s7, s[16:17], s[2:3]
	s_and_b32 vcc_lo, exec_lo, s7
	s_cbranch_vccnz .LBB11_126
; %bb.97:
	s_mul_u64 s[2:3], s[14:15], s[2:3]
	s_and_saveexec_b32 s7, s0
	s_cbranch_execz .LBB11_106
; %bb.98:
	v_ashrrev_i32_e32 v1, 31, v0
	v_lshl_add_u64 v[14:15], s[2:3], 2, v[2:3]
	s_mov_b32 s9, exec_lo
	s_delay_alu instid0(VALU_DEP_2)
	v_cmpx_gt_i64_e64 s[10:11], v[0:1]
	s_cbranch_execz .LBB11_100
; %bb.99:
	v_mul_u64_e32 v[16:17], s[12:13], v[0:1]
	s_delay_alu instid0(VALU_DEP_1)
	v_lshl_add_u64 v[16:17], v[16:17], 2, v[14:15]
	global_load_b32 v1, v[16:17], off
	s_wait_loadcnt 0x0
	ds_store_b32 v18, v1
.LBB11_100:
	s_wait_xcnt 0x0
	s_or_b32 exec_lo, exec_lo, s9
	v_add_nc_u32_e32 v16, 8, v0
	s_mov_b32 s9, exec_lo
	s_delay_alu instid0(VALU_DEP_1) | instskip(NEXT) | instid1(VALU_DEP_1)
	v_ashrrev_i32_e32 v17, 31, v16
	v_cmpx_gt_i64_e64 s[10:11], v[16:17]
	s_cbranch_execz .LBB11_102
; %bb.101:
	v_mul_u64_e32 v[16:17], s[12:13], v[16:17]
	s_delay_alu instid0(VALU_DEP_1)
	v_lshl_add_u64 v[16:17], v[16:17], 2, v[14:15]
	global_load_b32 v1, v[16:17], off
	s_wait_loadcnt 0x0
	ds_store_b32 v18, v1 offset:1056
.LBB11_102:
	s_wait_xcnt 0x0
	s_or_b32 exec_lo, exec_lo, s9
	v_add_nc_u32_e32 v16, 16, v0
	s_mov_b32 s9, exec_lo
	s_delay_alu instid0(VALU_DEP_1) | instskip(NEXT) | instid1(VALU_DEP_1)
	v_ashrrev_i32_e32 v17, 31, v16
	v_cmpx_gt_i64_e64 s[10:11], v[16:17]
	s_cbranch_execz .LBB11_104
; %bb.103:
	v_mul_u64_e32 v[16:17], s[12:13], v[16:17]
	s_delay_alu instid0(VALU_DEP_1)
	v_lshl_add_u64 v[16:17], v[16:17], 2, v[14:15]
	global_load_b32 v1, v[16:17], off
	s_wait_loadcnt 0x0
	ds_store_b32 v18, v1 offset:2112
.LBB11_104:
	s_wait_xcnt 0x0
	s_or_b32 exec_lo, exec_lo, s9
	v_add_nc_u32_e32 v16, 24, v0
	s_delay_alu instid0(VALU_DEP_1) | instskip(NEXT) | instid1(VALU_DEP_1)
	v_ashrrev_i32_e32 v17, 31, v16
	v_cmp_gt_i64_e32 vcc_lo, s[10:11], v[16:17]
	s_and_b32 exec_lo, exec_lo, vcc_lo
	s_cbranch_execz .LBB11_106
; %bb.105:
	v_mul_u64_e32 v[16:17], s[12:13], v[16:17]
	s_delay_alu instid0(VALU_DEP_1)
	v_lshl_add_u64 v[14:15], v[16:17], 2, v[14:15]
	global_load_b32 v1, v[14:15], off
	s_wait_loadcnt 0x0
	ds_store_b32 v18, v1 offset:3168
.LBB11_106:
	s_wait_xcnt 0x0
	s_or_b32 exec_lo, exec_lo, s7
	v_lshl_add_u64 v[14:15], s[2:3], 2, v[8:9]
	s_wait_storecnt_dscnt 0x0
	s_barrier_signal -1
	s_barrier_wait -1
	s_and_saveexec_b32 s2, s4
	s_cbranch_execnz .LBB11_143
; %bb.107:
	s_or_b32 exec_lo, exec_lo, s2
	s_and_saveexec_b32 s2, s1
	s_cbranch_execnz .LBB11_144
.LBB11_108:
	s_or_b32 exec_lo, exec_lo, s2
	s_and_saveexec_b32 s2, s5
	s_cbranch_execnz .LBB11_145
.LBB11_109:
	s_or_b32 exec_lo, exec_lo, s2
	s_and_saveexec_b32 s2, s6
	s_cbranch_execz .LBB11_111
.LBB11_110:
	v_mul_u64_e32 v[16:17], s[10:11], v[12:13]
	ds_load_b32 v1, v19 offset:96
	v_lshl_add_u64 v[14:15], v[16:17], 2, v[14:15]
	s_wait_dscnt 0x0
	global_store_b32 v[14:15], v1, off
.LBB11_111:
	s_wait_xcnt 0x0
	s_or_b32 exec_lo, exec_lo, s2
	s_or_b32 s2, s8, 7
	s_mov_b32 s3, 0
	s_delay_alu instid0(SALU_CYCLE_1)
	v_cmp_le_u64_e64 s7, s[16:17], s[2:3]
	s_and_b32 vcc_lo, exec_lo, s7
	s_cbranch_vccnz .LBB11_126
; %bb.112:
	s_mul_u64 s[2:3], s[14:15], s[2:3]
	s_and_saveexec_b32 s7, s0
	s_cbranch_execz .LBB11_121
; %bb.113:
	v_ashrrev_i32_e32 v1, 31, v0
	v_lshl_add_u64 v[2:3], s[2:3], 2, v[2:3]
	s_mov_b32 s0, exec_lo
	s_delay_alu instid0(VALU_DEP_2)
	v_cmpx_gt_i64_e64 s[10:11], v[0:1]
	s_cbranch_execz .LBB11_115
; %bb.114:
	v_mul_u64_e32 v[14:15], s[12:13], v[0:1]
	s_delay_alu instid0(VALU_DEP_1)
	v_lshl_add_u64 v[14:15], v[14:15], 2, v[2:3]
	global_load_b32 v1, v[14:15], off
	s_wait_loadcnt 0x0
	ds_store_b32 v18, v1 offset:4224
.LBB11_115:
	s_wait_xcnt 0x0
	s_or_b32 exec_lo, exec_lo, s0
	v_add_nc_u32_e32 v14, 8, v0
	s_mov_b32 s0, exec_lo
	s_delay_alu instid0(VALU_DEP_1) | instskip(NEXT) | instid1(VALU_DEP_1)
	v_ashrrev_i32_e32 v15, 31, v14
	v_cmpx_gt_i64_e64 s[10:11], v[14:15]
	s_cbranch_execz .LBB11_117
; %bb.116:
	v_mul_u64_e32 v[14:15], s[12:13], v[14:15]
	s_delay_alu instid0(VALU_DEP_1)
	v_lshl_add_u64 v[14:15], v[14:15], 2, v[2:3]
	global_load_b32 v1, v[14:15], off
	s_wait_loadcnt 0x0
	ds_store_b32 v18, v1 offset:5280
.LBB11_117:
	s_wait_xcnt 0x0
	s_or_b32 exec_lo, exec_lo, s0
	v_add_nc_u32_e32 v14, 16, v0
	s_mov_b32 s0, exec_lo
	s_delay_alu instid0(VALU_DEP_1) | instskip(NEXT) | instid1(VALU_DEP_1)
	v_ashrrev_i32_e32 v15, 31, v14
	v_cmpx_gt_i64_e64 s[10:11], v[14:15]
	s_cbranch_execz .LBB11_119
; %bb.118:
	v_mul_u64_e32 v[14:15], s[12:13], v[14:15]
	s_delay_alu instid0(VALU_DEP_1)
	v_lshl_add_u64 v[14:15], v[14:15], 2, v[2:3]
	global_load_b32 v1, v[14:15], off
	s_wait_loadcnt 0x0
	ds_store_b32 v18, v1 offset:6336
.LBB11_119:
	s_wait_xcnt 0x0
	s_or_b32 exec_lo, exec_lo, s0
	v_add_nc_u32_e32 v0, 24, v0
	s_delay_alu instid0(VALU_DEP_1) | instskip(NEXT) | instid1(VALU_DEP_1)
	v_ashrrev_i32_e32 v1, 31, v0
	v_cmp_gt_i64_e32 vcc_lo, s[10:11], v[0:1]
	s_and_b32 exec_lo, exec_lo, vcc_lo
	s_cbranch_execz .LBB11_121
; %bb.120:
	v_mul_u64_e32 v[0:1], s[12:13], v[0:1]
	s_delay_alu instid0(VALU_DEP_1)
	v_lshl_add_u64 v[0:1], v[0:1], 2, v[2:3]
	global_load_b32 v0, v[0:1], off
	s_wait_loadcnt 0x0
	ds_store_b32 v18, v0 offset:7392
.LBB11_121:
	s_wait_xcnt 0x0
	s_or_b32 exec_lo, exec_lo, s7
	v_lshl_add_u64 v[0:1], s[2:3], 2, v[8:9]
	s_wait_storecnt_dscnt 0x0
	s_barrier_signal -1
	s_barrier_wait -1
	s_and_saveexec_b32 s0, s4
	s_cbranch_execnz .LBB11_146
; %bb.122:
	s_or_b32 exec_lo, exec_lo, s0
	s_and_saveexec_b32 s0, s1
	s_cbranch_execnz .LBB11_147
.LBB11_123:
	s_or_b32 exec_lo, exec_lo, s0
	s_and_saveexec_b32 s0, s5
	s_cbranch_execnz .LBB11_148
.LBB11_124:
	s_or_b32 exec_lo, exec_lo, s0
	s_and_saveexec_b32 s0, s6
	s_cbranch_execz .LBB11_126
.LBB11_125:
	v_mul_u64_e32 v[2:3], s[10:11], v[12:13]
	ds_load_b32 v4, v19 offset:4320
	v_lshl_add_u64 v[0:1], v[2:3], 2, v[0:1]
	s_wait_dscnt 0x0
	global_store_b32 v[0:1], v4, off
.LBB11_126:
	s_endpgm
.LBB11_127:
                                        ; implicit-def: $sgpr16_sgpr17
	s_branch .LBB11_2
.LBB11_128:
	v_mul_u64_e32 v[16:17], s[10:11], v[4:5]
	ds_load_b32 v1, v19 offset:4224
	v_lshl_add_u64 v[16:17], v[16:17], 2, v[14:15]
	s_wait_dscnt 0x0
	global_store_b32 v[16:17], v1, off
	s_wait_xcnt 0x0
	s_or_b32 exec_lo, exec_lo, s2
	s_and_saveexec_b32 s2, s1
	s_cbranch_execz .LBB11_33
.LBB11_129:
	v_mul_u64_e32 v[16:17], s[10:11], v[6:7]
	ds_load_b32 v1, v19 offset:4256
	v_lshl_add_u64 v[16:17], v[16:17], 2, v[14:15]
	s_wait_dscnt 0x0
	global_store_b32 v[16:17], v1, off
	s_wait_xcnt 0x0
	s_or_b32 exec_lo, exec_lo, s2
	s_and_saveexec_b32 s2, s5
	s_cbranch_execz .LBB11_34
.LBB11_130:
	v_mul_u64_e32 v[16:17], s[10:11], v[10:11]
	ds_load_b32 v1, v19 offset:4288
	v_lshl_add_u64 v[16:17], v[16:17], 2, v[14:15]
	s_wait_dscnt 0x0
	global_store_b32 v[16:17], v1, off
	s_wait_xcnt 0x0
	s_or_b32 exec_lo, exec_lo, s2
	s_and_saveexec_b32 s2, s6
	s_cbranch_execnz .LBB11_35
	s_branch .LBB11_36
.LBB11_131:
	v_mul_u64_e32 v[16:17], s[10:11], v[4:5]
	ds_load_b32 v1, v19
	v_lshl_add_u64 v[16:17], v[16:17], 2, v[14:15]
	s_wait_dscnt 0x0
	global_store_b32 v[16:17], v1, off
	s_wait_xcnt 0x0
	s_or_b32 exec_lo, exec_lo, s2
	s_and_saveexec_b32 s2, s1
	s_cbranch_execz .LBB11_48
.LBB11_132:
	v_mul_u64_e32 v[16:17], s[10:11], v[6:7]
	ds_load_b32 v1, v19 offset:32
	v_lshl_add_u64 v[16:17], v[16:17], 2, v[14:15]
	s_wait_dscnt 0x0
	global_store_b32 v[16:17], v1, off
	s_wait_xcnt 0x0
	s_or_b32 exec_lo, exec_lo, s2
	s_and_saveexec_b32 s2, s5
	s_cbranch_execz .LBB11_49
.LBB11_133:
	v_mul_u64_e32 v[16:17], s[10:11], v[10:11]
	ds_load_b32 v1, v19 offset:64
	v_lshl_add_u64 v[16:17], v[16:17], 2, v[14:15]
	s_wait_dscnt 0x0
	global_store_b32 v[16:17], v1, off
	s_wait_xcnt 0x0
	s_or_b32 exec_lo, exec_lo, s2
	s_and_saveexec_b32 s2, s6
	s_cbranch_execnz .LBB11_50
	s_branch .LBB11_51
.LBB11_134:
	v_mul_u64_e32 v[16:17], s[10:11], v[4:5]
	ds_load_b32 v1, v19 offset:4224
	v_lshl_add_u64 v[16:17], v[16:17], 2, v[14:15]
	s_wait_dscnt 0x0
	global_store_b32 v[16:17], v1, off
	s_wait_xcnt 0x0
	s_or_b32 exec_lo, exec_lo, s2
	s_and_saveexec_b32 s2, s1
	s_cbranch_execz .LBB11_63
.LBB11_135:
	v_mul_u64_e32 v[16:17], s[10:11], v[6:7]
	ds_load_b32 v1, v19 offset:4256
	v_lshl_add_u64 v[16:17], v[16:17], 2, v[14:15]
	s_wait_dscnt 0x0
	global_store_b32 v[16:17], v1, off
	s_wait_xcnt 0x0
	s_or_b32 exec_lo, exec_lo, s2
	s_and_saveexec_b32 s2, s5
	s_cbranch_execz .LBB11_64
.LBB11_136:
	v_mul_u64_e32 v[16:17], s[10:11], v[10:11]
	ds_load_b32 v1, v19 offset:4288
	v_lshl_add_u64 v[16:17], v[16:17], 2, v[14:15]
	s_wait_dscnt 0x0
	global_store_b32 v[16:17], v1, off
	s_wait_xcnt 0x0
	s_or_b32 exec_lo, exec_lo, s2
	s_and_saveexec_b32 s2, s6
	s_cbranch_execnz .LBB11_65
	s_branch .LBB11_66
.LBB11_137:
	v_mul_u64_e32 v[16:17], s[10:11], v[4:5]
	ds_load_b32 v1, v19
	v_lshl_add_u64 v[16:17], v[16:17], 2, v[14:15]
	s_wait_dscnt 0x0
	global_store_b32 v[16:17], v1, off
	s_wait_xcnt 0x0
	s_or_b32 exec_lo, exec_lo, s2
	s_and_saveexec_b32 s2, s1
	s_cbranch_execz .LBB11_78
.LBB11_138:
	v_mul_u64_e32 v[16:17], s[10:11], v[6:7]
	ds_load_b32 v1, v19 offset:32
	v_lshl_add_u64 v[16:17], v[16:17], 2, v[14:15]
	s_wait_dscnt 0x0
	global_store_b32 v[16:17], v1, off
	s_wait_xcnt 0x0
	s_or_b32 exec_lo, exec_lo, s2
	s_and_saveexec_b32 s2, s5
	s_cbranch_execz .LBB11_79
.LBB11_139:
	v_mul_u64_e32 v[16:17], s[10:11], v[10:11]
	ds_load_b32 v1, v19 offset:64
	v_lshl_add_u64 v[16:17], v[16:17], 2, v[14:15]
	s_wait_dscnt 0x0
	global_store_b32 v[16:17], v1, off
	s_wait_xcnt 0x0
	s_or_b32 exec_lo, exec_lo, s2
	s_and_saveexec_b32 s2, s6
	s_cbranch_execnz .LBB11_80
	s_branch .LBB11_81
.LBB11_140:
	v_mul_u64_e32 v[16:17], s[10:11], v[4:5]
	ds_load_b32 v1, v19 offset:4224
	v_lshl_add_u64 v[16:17], v[16:17], 2, v[14:15]
	s_wait_dscnt 0x0
	global_store_b32 v[16:17], v1, off
	s_wait_xcnt 0x0
	s_or_b32 exec_lo, exec_lo, s2
	s_and_saveexec_b32 s2, s1
	s_cbranch_execz .LBB11_93
.LBB11_141:
	v_mul_u64_e32 v[16:17], s[10:11], v[6:7]
	ds_load_b32 v1, v19 offset:4256
	v_lshl_add_u64 v[16:17], v[16:17], 2, v[14:15]
	s_wait_dscnt 0x0
	global_store_b32 v[16:17], v1, off
	s_wait_xcnt 0x0
	s_or_b32 exec_lo, exec_lo, s2
	s_and_saveexec_b32 s2, s5
	s_cbranch_execz .LBB11_94
.LBB11_142:
	v_mul_u64_e32 v[16:17], s[10:11], v[10:11]
	ds_load_b32 v1, v19 offset:4288
	v_lshl_add_u64 v[16:17], v[16:17], 2, v[14:15]
	s_wait_dscnt 0x0
	global_store_b32 v[16:17], v1, off
	s_wait_xcnt 0x0
	s_or_b32 exec_lo, exec_lo, s2
	s_and_saveexec_b32 s2, s6
	s_cbranch_execnz .LBB11_95
	s_branch .LBB11_96
.LBB11_143:
	v_mul_u64_e32 v[16:17], s[10:11], v[4:5]
	ds_load_b32 v1, v19
	v_lshl_add_u64 v[16:17], v[16:17], 2, v[14:15]
	s_wait_dscnt 0x0
	global_store_b32 v[16:17], v1, off
	s_wait_xcnt 0x0
	s_or_b32 exec_lo, exec_lo, s2
	s_and_saveexec_b32 s2, s1
	s_cbranch_execz .LBB11_108
.LBB11_144:
	v_mul_u64_e32 v[16:17], s[10:11], v[6:7]
	ds_load_b32 v1, v19 offset:32
	v_lshl_add_u64 v[16:17], v[16:17], 2, v[14:15]
	s_wait_dscnt 0x0
	global_store_b32 v[16:17], v1, off
	s_wait_xcnt 0x0
	s_or_b32 exec_lo, exec_lo, s2
	s_and_saveexec_b32 s2, s5
	s_cbranch_execz .LBB11_109
.LBB11_145:
	v_mul_u64_e32 v[16:17], s[10:11], v[10:11]
	ds_load_b32 v1, v19 offset:64
	v_lshl_add_u64 v[16:17], v[16:17], 2, v[14:15]
	s_wait_dscnt 0x0
	global_store_b32 v[16:17], v1, off
	s_wait_xcnt 0x0
	s_or_b32 exec_lo, exec_lo, s2
	s_and_saveexec_b32 s2, s6
	s_cbranch_execnz .LBB11_110
	s_branch .LBB11_111
.LBB11_146:
	v_mul_u64_e32 v[2:3], s[10:11], v[4:5]
	ds_load_b32 v4, v19 offset:4224
	v_lshl_add_u64 v[2:3], v[2:3], 2, v[0:1]
	s_wait_dscnt 0x0
	global_store_b32 v[2:3], v4, off
	s_wait_xcnt 0x0
	s_or_b32 exec_lo, exec_lo, s0
	s_and_saveexec_b32 s0, s1
	s_cbranch_execz .LBB11_123
.LBB11_147:
	v_mul_u64_e32 v[2:3], s[10:11], v[6:7]
	ds_load_b32 v4, v19 offset:4256
	v_lshl_add_u64 v[2:3], v[2:3], 2, v[0:1]
	s_wait_dscnt 0x0
	global_store_b32 v[2:3], v4, off
	s_wait_xcnt 0x0
	s_or_b32 exec_lo, exec_lo, s0
	s_and_saveexec_b32 s0, s5
	s_cbranch_execz .LBB11_124
.LBB11_148:
	v_mul_u64_e32 v[2:3], s[10:11], v[10:11]
	ds_load_b32 v4, v19 offset:4288
	v_lshl_add_u64 v[2:3], v[2:3], 2, v[0:1]
	s_wait_dscnt 0x0
	global_store_b32 v[2:3], v4, off
	s_wait_xcnt 0x0
	s_or_b32 exec_lo, exec_lo, s0
	s_and_saveexec_b32 s0, s6
	s_cbranch_execnz .LBB11_125
	s_branch .LBB11_126
	.section	.rodata,"a",@progbits
	.p2align	6, 0x0
	.amdhsa_kernel _ZL20cpy_scalar_transposeIfEvPKcPclllllllllllllll
		.amdhsa_group_segment_fixed_size 8448
		.amdhsa_private_segment_fixed_size 0
		.amdhsa_kernarg_size 136
		.amdhsa_user_sgpr_count 2
		.amdhsa_user_sgpr_dispatch_ptr 0
		.amdhsa_user_sgpr_queue_ptr 0
		.amdhsa_user_sgpr_kernarg_segment_ptr 1
		.amdhsa_user_sgpr_dispatch_id 0
		.amdhsa_user_sgpr_kernarg_preload_length 0
		.amdhsa_user_sgpr_kernarg_preload_offset 0
		.amdhsa_user_sgpr_private_segment_size 0
		.amdhsa_wavefront_size32 1
		.amdhsa_uses_dynamic_stack 0
		.amdhsa_enable_private_segment 0
		.amdhsa_system_sgpr_workgroup_id_x 1
		.amdhsa_system_sgpr_workgroup_id_y 1
		.amdhsa_system_sgpr_workgroup_id_z 1
		.amdhsa_system_sgpr_workgroup_info 0
		.amdhsa_system_vgpr_workitem_id 1
		.amdhsa_next_free_vgpr 20
		.amdhsa_next_free_sgpr 30
		.amdhsa_named_barrier_count 0
		.amdhsa_reserve_vcc 1
		.amdhsa_float_round_mode_32 0
		.amdhsa_float_round_mode_16_64 0
		.amdhsa_float_denorm_mode_32 3
		.amdhsa_float_denorm_mode_16_64 3
		.amdhsa_fp16_overflow 0
		.amdhsa_memory_ordered 1
		.amdhsa_forward_progress 1
		.amdhsa_inst_pref_size 47
		.amdhsa_round_robin_scheduling 0
		.amdhsa_exception_fp_ieee_invalid_op 0
		.amdhsa_exception_fp_denorm_src 0
		.amdhsa_exception_fp_ieee_div_zero 0
		.amdhsa_exception_fp_ieee_overflow 0
		.amdhsa_exception_fp_ieee_underflow 0
		.amdhsa_exception_fp_ieee_inexact 0
		.amdhsa_exception_int_div_zero 0
	.end_amdhsa_kernel
	.section	.text._ZL20cpy_scalar_transposeIfEvPKcPclllllllllllllll,"axG",@progbits,_ZL20cpy_scalar_transposeIfEvPKcPclllllllllllllll,comdat
.Lfunc_end11:
	.size	_ZL20cpy_scalar_transposeIfEvPKcPclllllllllllllll, .Lfunc_end11-_ZL20cpy_scalar_transposeIfEvPKcPclllllllllllllll
                                        ; -- End function
	.set _ZL20cpy_scalar_transposeIfEvPKcPclllllllllllllll.num_vgpr, 20
	.set _ZL20cpy_scalar_transposeIfEvPKcPclllllllllllllll.num_agpr, 0
	.set _ZL20cpy_scalar_transposeIfEvPKcPclllllllllllllll.numbered_sgpr, 30
	.set _ZL20cpy_scalar_transposeIfEvPKcPclllllllllllllll.num_named_barrier, 0
	.set _ZL20cpy_scalar_transposeIfEvPKcPclllllllllllllll.private_seg_size, 0
	.set _ZL20cpy_scalar_transposeIfEvPKcPclllllllllllllll.uses_vcc, 1
	.set _ZL20cpy_scalar_transposeIfEvPKcPclllllllllllllll.uses_flat_scratch, 0
	.set _ZL20cpy_scalar_transposeIfEvPKcPclllllllllllllll.has_dyn_sized_stack, 0
	.set _ZL20cpy_scalar_transposeIfEvPKcPclllllllllllllll.has_recursion, 0
	.set _ZL20cpy_scalar_transposeIfEvPKcPclllllllllllllll.has_indirect_call, 0
	.section	.AMDGPU.csdata,"",@progbits
; Kernel info:
; codeLenInByte = 5904
; TotalNumSgprs: 32
; NumVgprs: 20
; ScratchSize: 0
; MemoryBound: 0
; FloatMode: 240
; IeeeMode: 1
; LDSByteSize: 8448 bytes/workgroup (compile time only)
; SGPRBlocks: 0
; VGPRBlocks: 1
; NumSGPRsForWavesPerEU: 32
; NumVGPRsForWavesPerEU: 20
; NamedBarCnt: 0
; Occupancy: 16
; WaveLimiterHint : 0
; COMPUTE_PGM_RSRC2:SCRATCH_EN: 0
; COMPUTE_PGM_RSRC2:USER_SGPR: 2
; COMPUTE_PGM_RSRC2:TRAP_HANDLER: 0
; COMPUTE_PGM_RSRC2:TGID_X_EN: 1
; COMPUTE_PGM_RSRC2:TGID_Y_EN: 1
; COMPUTE_PGM_RSRC2:TGID_Z_EN: 1
; COMPUTE_PGM_RSRC2:TIDIG_COMP_CNT: 1
	.section	.text._ZL10cpy_scalarIXadL_ZL12cpy_1_scalarIffEvPKcPcEEEvS2_S3_lllllllllllllll,"axG",@progbits,_ZL10cpy_scalarIXadL_ZL12cpy_1_scalarIffEvPKcPcEEEvS2_S3_lllllllllllllll,comdat
	.globl	_ZL10cpy_scalarIXadL_ZL12cpy_1_scalarIffEvPKcPcEEEvS2_S3_lllllllllllllll ; -- Begin function _ZL10cpy_scalarIXadL_ZL12cpy_1_scalarIffEvPKcPcEEEvS2_S3_lllllllllllllll
	.p2align	8
	.type	_ZL10cpy_scalarIXadL_ZL12cpy_1_scalarIffEvPKcPcEEEvS2_S3_lllllllllllllll,@function
_ZL10cpy_scalarIXadL_ZL12cpy_1_scalarIffEvPKcPcEEEvS2_S3_lllllllllllllll: ; @_ZL10cpy_scalarIXadL_ZL12cpy_1_scalarIffEvPKcPcEEEvS2_S3_lllllllllllllll
; %bb.0:
	s_load_b32 s2, s[0:1], 0x94
	s_bfe_u32 s4, ttmp6, 0x4000c
	v_mov_b32_e32 v2, 0
	s_add_co_i32 s21, s4, 1
	s_load_b512 s[4:19], s[0:1], 0x0
	s_and_b32 s3, ttmp6, 15
	s_mul_i32 s21, ttmp9, s21
	s_getreg_b32 s20, hwreg(HW_REG_IB_STS2, 6, 4)
	v_mov_b32_e32 v1, v2
	s_add_co_i32 s3, s3, s21
	s_wait_kmcnt 0x0
	s_and_b32 s2, s2, 0xffff
	s_cmp_eq_u32 s20, 0
	s_cselect_b32 s3, ttmp9, s3
	s_delay_alu instid0(SALU_CYCLE_1) | instskip(SKIP_1) | instid1(VALU_DEP_1)
	v_mad_nc_u64_u32 v[4:5], s2, s3, v[0:1]
	s_mov_b32 s2, exec_lo
	v_cmpx_gt_i64_e64 s[8:9], v[4:5]
	s_cbranch_execz .LBB12_26
; %bb.1:
	s_mul_u64 s[8:9], s[12:13], s[10:11]
                                        ; implicit-def: $vgpr0_vgpr1
	s_mov_b32 s2, exec_lo
	s_mul_u64 s[12:13], s[8:9], s[14:15]
	s_delay_alu instid0(SALU_CYCLE_1) | instskip(NEXT) | instid1(VALU_DEP_1)
	v_dual_ashrrev_i32 v8, 31, v5 :: v_dual_bitop2_b32 v3, s13, v5 bitop3:0x54
	v_cmpx_ne_u64_e32 0, v[2:3]
	s_xor_b32 s3, exec_lo, s2
	s_cbranch_execz .LBB12_3
; %bb.2:
	s_ashr_i32 s14, s13, 31
	s_mov_b32 s29, 0
	s_mov_b32 s15, s14
	v_dual_mov_b32 v9, v8 :: v_dual_mov_b32 v3, 0
	s_add_nc_u64 s[20:21], s[12:13], s[14:15]
	s_delay_alu instid0(SALU_CYCLE_1) | instskip(NEXT) | instid1(VALU_DEP_1)
	s_xor_b64 s[20:21], s[20:21], s[14:15]
	v_add_nc_u64_e32 v[0:1], v[4:5], v[8:9]
	s_cvt_f32_u32 s2, s20
	s_cvt_f32_u32 s15, s21
	s_sub_nc_u64 s[24:25], 0, s[20:21]
	v_dual_mov_b32 v7, v3 :: v_dual_mov_b32 v15, v3
	s_delay_alu instid0(SALU_CYCLE_1) | instskip(NEXT) | instid1(VALU_DEP_2)
	s_fmamk_f32 s2, s15, 0x4f800000, s2
	v_xor_b32_e32 v2, v0, v8
	v_xor_b32_e32 v6, v1, v8
	s_delay_alu instid0(SALU_CYCLE_1) | instskip(NEXT) | instid1(TRANS32_DEP_1)
	v_s_rcp_f32 s2, s2
	s_mul_f32 s2, s2, 0x5f7ffffc
	s_delay_alu instid0(SALU_CYCLE_3) | instskip(NEXT) | instid1(SALU_CYCLE_3)
	s_mul_f32 s15, s2, 0x2f800000
	s_trunc_f32 s15, s15
	s_delay_alu instid0(SALU_CYCLE_3) | instskip(SKIP_1) | instid1(SALU_CYCLE_2)
	s_fmamk_f32 s2, s15, 0xcf800000, s2
	s_cvt_u32_f32 s23, s15
	s_cvt_u32_f32 s22, s2
	s_delay_alu instid0(SALU_CYCLE_3) | instskip(NEXT) | instid1(SALU_CYCLE_1)
	s_mul_u64 s[26:27], s[24:25], s[22:23]
	s_mul_hi_u32 s31, s22, s27
	s_mul_i32 s30, s22, s27
	s_mul_hi_u32 s28, s22, s26
	s_mul_i32 s15, s23, s26
	s_add_nc_u64 s[30:31], s[28:29], s[30:31]
	s_mul_hi_u32 s2, s23, s26
	s_mul_hi_u32 s33, s23, s27
	s_add_co_u32 s15, s30, s15
	s_add_co_ci_u32 s28, s31, s2
	s_mul_i32 s26, s23, s27
	s_add_co_ci_u32 s27, s33, 0
	s_delay_alu instid0(SALU_CYCLE_1) | instskip(NEXT) | instid1(SALU_CYCLE_1)
	s_add_nc_u64 s[26:27], s[28:29], s[26:27]
	s_add_co_u32 s22, s22, s26
	s_cselect_b32 s2, -1, 0
	s_delay_alu instid0(SALU_CYCLE_1) | instskip(SKIP_1) | instid1(SALU_CYCLE_1)
	s_cmp_lg_u32 s2, 0
	s_add_co_ci_u32 s23, s23, s27
	s_mul_u64 s[24:25], s[24:25], s[22:23]
	s_delay_alu instid0(SALU_CYCLE_1)
	s_mul_hi_u32 s27, s22, s25
	s_mul_i32 s26, s22, s25
	s_mul_hi_u32 s28, s22, s24
	s_mul_i32 s15, s23, s24
	s_add_nc_u64 s[26:27], s[28:29], s[26:27]
	s_mul_hi_u32 s2, s23, s24
	s_mul_hi_u32 s30, s23, s25
	s_add_co_u32 s15, s26, s15
	s_add_co_ci_u32 s28, s27, s2
	s_mul_i32 s24, s23, s25
	s_add_co_ci_u32 s25, s30, 0
	s_delay_alu instid0(SALU_CYCLE_1) | instskip(NEXT) | instid1(SALU_CYCLE_1)
	s_add_nc_u64 s[24:25], s[28:29], s[24:25]
	s_add_co_u32 s2, s22, s24
	s_cselect_b32 s15, -1, 0
	v_nop
	v_mul_hi_u32 v14, v2, s2
	s_cmp_lg_u32 s15, 0
	s_add_co_ci_u32 s28, s23, s25
	s_mov_b64 s[22:23], 0xffffffff
	v_mul_u64_e32 v[10:11], s[28:29], v[2:3]
	s_and_b64 s[22:23], s[2:3], s[22:23]
	v_mul_u64_e32 v[12:13], s[28:29], v[6:7]
	v_mul_u64_e32 v[0:1], s[22:23], v[6:7]
	s_delay_alu instid0(VALU_DEP_3) | instskip(NEXT) | instid1(VALU_DEP_1)
	v_add_nc_u64_e32 v[10:11], v[14:15], v[10:11]
	v_add_co_u32 v0, vcc_lo, v10, v0
	s_delay_alu instid0(VALU_DEP_2) | instskip(SKIP_1) | instid1(VALU_DEP_1)
	v_add_co_ci_u32_e32 v14, vcc_lo, v11, v1, vcc_lo
	v_add_co_ci_u32_e32 v13, vcc_lo, 0, v13, vcc_lo
	v_add_nc_u64_e32 v[0:1], v[14:15], v[12:13]
	s_delay_alu instid0(VALU_DEP_1) | instskip(NEXT) | instid1(VALU_DEP_1)
	v_mul_u64_e32 v[10:11], s[20:21], v[0:1]
	v_sub_nc_u32_e32 v3, v6, v11
	s_delay_alu instid0(VALU_DEP_2) | instskip(NEXT) | instid1(VALU_DEP_1)
	v_sub_co_u32 v2, vcc_lo, v2, v10
	v_sub_co_ci_u32_e64 v9, null, v6, v11, vcc_lo
	s_delay_alu instid0(VALU_DEP_3) | instskip(NEXT) | instid1(VALU_DEP_3)
	v_subrev_co_ci_u32_e64 v3, null, s21, v3, vcc_lo
	v_sub_co_u32 v7, s2, v2, s20
	s_delay_alu instid0(VALU_DEP_1) | instskip(NEXT) | instid1(VALU_DEP_2)
	v_subrev_co_ci_u32_e64 v3, null, 0, v3, s2
	v_cmp_le_u32_e32 vcc_lo, s20, v7
	v_cndmask_b32_e64 v6, 0, -1, vcc_lo
	s_delay_alu instid0(VALU_DEP_3)
	v_cmp_le_u32_e32 vcc_lo, s21, v3
	v_cndmask_b32_e64 v7, 0, -1, vcc_lo
	v_cmp_le_u32_e32 vcc_lo, s20, v2
	v_cndmask_b32_e64 v10, 0, -1, vcc_lo
	;; [unrolled: 2-line block ×3, first 2 shown]
	v_cmp_eq_u32_e32 vcc_lo, s21, v3
	v_add_nc_u64_e32 v[2:3], 2, v[0:1]
	v_cndmask_b32_e32 v12, v7, v6, vcc_lo
	v_cmp_eq_u32_e32 vcc_lo, s21, v9
	v_add_nc_u64_e32 v[6:7], 1, v[0:1]
	v_cndmask_b32_e32 v9, v11, v10, vcc_lo
	s_delay_alu instid0(VALU_DEP_4) | instskip(NEXT) | instid1(VALU_DEP_3)
	v_cmp_ne_u32_e32 vcc_lo, 0, v12
	v_dual_cndmask_b32 v3, v7, v3 :: v_dual_cndmask_b32 v6, v6, v2
	v_xor_b32_e32 v2, s14, v8
	s_delay_alu instid0(VALU_DEP_4) | instskip(NEXT) | instid1(VALU_DEP_1)
	v_cmp_ne_u32_e64 s2, 0, v9
	v_dual_cndmask_b32 v1, v1, v3, s2 :: v_dual_cndmask_b32 v0, v0, v6, s2
	s_delay_alu instid0(VALU_DEP_1) | instskip(NEXT) | instid1(VALU_DEP_2)
	v_dual_mov_b32 v3, v2 :: v_dual_bitop2_b32 v1, v1, v2 bitop3:0x14
	v_xor_b32_e32 v0, v0, v2
	s_delay_alu instid0(VALU_DEP_1)
	v_sub_nc_u64_e32 v[0:1], v[0:1], v[2:3]
.LBB12_3:
	s_and_not1_saveexec_b32 s2, s3
	s_cbranch_execz .LBB12_5
; %bb.4:
	v_cvt_f32_u32_e32 v0, s12
	s_sub_co_i32 s3, 0, s12
	s_delay_alu instid0(VALU_DEP_1) | instskip(SKIP_1) | instid1(TRANS32_DEP_1)
	v_rcp_iflag_f32_e32 v0, v0
	v_nop
	v_mul_f32_e32 v0, 0x4f7ffffe, v0
	s_delay_alu instid0(VALU_DEP_1) | instskip(NEXT) | instid1(VALU_DEP_1)
	v_cvt_u32_f32_e32 v0, v0
	v_mul_lo_u32 v1, s3, v0
	s_delay_alu instid0(VALU_DEP_1) | instskip(NEXT) | instid1(VALU_DEP_1)
	v_mul_hi_u32 v1, v0, v1
	v_add_nc_u32_e32 v0, v0, v1
	s_delay_alu instid0(VALU_DEP_1) | instskip(NEXT) | instid1(VALU_DEP_1)
	v_mul_hi_u32 v0, v4, v0
	v_mul_lo_u32 v1, v0, s12
	s_delay_alu instid0(VALU_DEP_1) | instskip(NEXT) | instid1(VALU_DEP_1)
	v_dual_add_nc_u32 v2, 1, v0 :: v_dual_sub_nc_u32 v1, v4, v1
	v_subrev_nc_u32_e32 v3, s12, v1
	v_cmp_le_u32_e32 vcc_lo, s12, v1
	s_delay_alu instid0(VALU_DEP_2) | instskip(NEXT) | instid1(VALU_DEP_1)
	v_dual_cndmask_b32 v1, v1, v3 :: v_dual_cndmask_b32 v0, v0, v2
	v_cmp_le_u32_e32 vcc_lo, s12, v1
	s_delay_alu instid0(VALU_DEP_2) | instskip(NEXT) | instid1(VALU_DEP_1)
	v_dual_mov_b32 v1, 0 :: v_dual_add_nc_u32 v2, 1, v0
	v_cndmask_b32_e32 v0, v0, v2, vcc_lo
.LBB12_5:
	s_or_b32 exec_lo, exec_lo, s2
	s_delay_alu instid0(VALU_DEP_1) | instskip(SKIP_2) | instid1(VALU_DEP_2)
	v_mul_u64_e32 v[2:3], s[12:13], v[0:1]
	s_mov_b32 s2, exec_lo
	v_mov_b32_e32 v10, 0
	v_sub_nc_u64_e32 v[6:7], v[4:5], v[2:3]
                                        ; implicit-def: $vgpr2_vgpr3
	s_delay_alu instid0(VALU_DEP_1) | instskip(NEXT) | instid1(VALU_DEP_1)
	v_or_b32_e32 v11, s9, v7
	v_cmpx_ne_u64_e32 0, v[10:11]
	s_xor_b32 s3, exec_lo, s2
	s_cbranch_execz .LBB12_7
; %bb.6:
	s_ashr_i32 s12, s9, 31
	s_mov_b32 s27, 0
	s_mov_b32 s13, s12
	v_dual_mov_b32 v15, v10 :: v_dual_ashrrev_i32 v2, 31, v7
	s_add_nc_u64 s[14:15], s[8:9], s[12:13]
	v_dual_mov_b32 v23, v10 :: v_dual_mov_b32 v11, v10
	s_xor_b64 s[14:15], s[14:15], s[12:13]
	s_delay_alu instid0(VALU_DEP_2) | instskip(SKIP_3) | instid1(VALU_DEP_1)
	v_mov_b32_e32 v3, v2
	s_cvt_f32_u32 s2, s14
	s_cvt_f32_u32 s13, s15
	s_sub_nc_u64 s[22:23], 0, s[14:15]
	v_add_nc_u64_e32 v[12:13], v[6:7], v[2:3]
	s_delay_alu instid0(SALU_CYCLE_1) | instskip(SKIP_1) | instid1(SALU_CYCLE_2)
	s_fmamk_f32 s2, s13, 0x4f800000, s2
	v_mov_b32_e32 v17, v10
	v_s_rcp_f32 s2, s2
	s_delay_alu instid0(VALU_DEP_2) | instskip(NEXT) | instid1(VALU_DEP_3)
	v_xor_b32_e32 v14, v12, v2
	v_xor_b32_e32 v16, v13, v2
	;; [unrolled: 1-line block ×3, first 2 shown]
	s_delay_alu instid0(TRANS32_DEP_1) | instskip(NEXT) | instid1(SALU_CYCLE_3)
	s_mul_f32 s2, s2, 0x5f7ffffc
	s_mul_f32 s13, s2, 0x2f800000
	s_delay_alu instid0(SALU_CYCLE_3) | instskip(NEXT) | instid1(SALU_CYCLE_3)
	s_trunc_f32 s13, s13
	s_fmamk_f32 s2, s13, 0xcf800000, s2
	s_cvt_u32_f32 s21, s13
	s_delay_alu instid0(SALU_CYCLE_2) | instskip(NEXT) | instid1(SALU_CYCLE_3)
	s_cvt_u32_f32 s20, s2
	s_mul_u64 s[24:25], s[22:23], s[20:21]
	s_delay_alu instid0(SALU_CYCLE_1)
	s_mul_hi_u32 s29, s20, s25
	s_mul_i32 s28, s20, s25
	s_mul_hi_u32 s26, s20, s24
	s_mul_i32 s13, s21, s24
	s_add_nc_u64 s[28:29], s[26:27], s[28:29]
	s_mul_hi_u32 s2, s21, s24
	s_mul_hi_u32 s30, s21, s25
	s_add_co_u32 s13, s28, s13
	s_add_co_ci_u32 s26, s29, s2
	s_mul_i32 s24, s21, s25
	s_add_co_ci_u32 s25, s30, 0
	s_delay_alu instid0(SALU_CYCLE_1) | instskip(NEXT) | instid1(SALU_CYCLE_1)
	s_add_nc_u64 s[24:25], s[26:27], s[24:25]
	s_add_co_u32 s20, s20, s24
	s_cselect_b32 s2, -1, 0
	s_delay_alu instid0(SALU_CYCLE_1) | instskip(SKIP_1) | instid1(SALU_CYCLE_1)
	s_cmp_lg_u32 s2, 0
	s_add_co_ci_u32 s21, s21, s25
	s_mul_u64 s[22:23], s[22:23], s[20:21]
	s_delay_alu instid0(SALU_CYCLE_1)
	s_mul_hi_u32 s25, s20, s23
	s_mul_i32 s24, s20, s23
	s_mul_hi_u32 s26, s20, s22
	s_mul_i32 s13, s21, s22
	s_add_nc_u64 s[24:25], s[26:27], s[24:25]
	s_mul_hi_u32 s2, s21, s22
	s_mul_hi_u32 s28, s21, s23
	s_add_co_u32 s13, s24, s13
	s_add_co_ci_u32 s26, s25, s2
	s_mul_i32 s22, s21, s23
	s_add_co_ci_u32 s23, s28, 0
	s_delay_alu instid0(SALU_CYCLE_1) | instskip(NEXT) | instid1(SALU_CYCLE_1)
	s_add_nc_u64 s[22:23], s[26:27], s[22:23]
	s_add_co_u32 s2, s20, s22
	s_cselect_b32 s13, -1, 0
	v_mul_hi_u32 v22, v14, s2
	s_cmp_lg_u32 s13, 0
	s_add_co_ci_u32 s26, s21, s23
	s_mov_b64 s[20:21], 0xffffffff
	v_mul_u64_e32 v[18:19], s[26:27], v[14:15]
	s_and_b64 s[20:21], s[2:3], s[20:21]
	v_mul_u64_e32 v[20:21], s[26:27], v[16:17]
	v_mul_u64_e32 v[12:13], s[20:21], v[16:17]
	s_delay_alu instid0(VALU_DEP_3) | instskip(NEXT) | instid1(VALU_DEP_1)
	v_add_nc_u64_e32 v[18:19], v[22:23], v[18:19]
	v_add_co_u32 v3, vcc_lo, v18, v12
	s_delay_alu instid0(VALU_DEP_2) | instskip(SKIP_1) | instid1(VALU_DEP_1)
	v_add_co_ci_u32_e32 v10, vcc_lo, v19, v13, vcc_lo
	v_add_co_ci_u32_e32 v21, vcc_lo, 0, v21, vcc_lo
	v_add_nc_u64_e32 v[10:11], v[10:11], v[20:21]
	s_delay_alu instid0(VALU_DEP_1) | instskip(NEXT) | instid1(VALU_DEP_1)
	v_mul_u64_e32 v[12:13], s[14:15], v[10:11]
	v_sub_co_u32 v9, vcc_lo, v14, v12
	v_add_nc_u64_e32 v[14:15], 1, v[10:11]
	s_delay_alu instid0(VALU_DEP_3) | instskip(SKIP_1) | instid1(VALU_DEP_4)
	v_sub_nc_u32_e32 v3, v16, v13
	v_sub_co_ci_u32_e64 v16, null, v16, v13, vcc_lo
	v_sub_co_u32 v12, s2, v9, s14
	s_delay_alu instid0(VALU_DEP_3) | instskip(NEXT) | instid1(VALU_DEP_2)
	v_subrev_co_ci_u32_e64 v3, null, s15, v3, vcc_lo
	v_cmp_le_u32_e32 vcc_lo, s14, v12
	s_delay_alu instid0(VALU_DEP_2) | instskip(SKIP_1) | instid1(VALU_DEP_2)
	v_subrev_co_ci_u32_e64 v3, null, 0, v3, s2
	v_cndmask_b32_e64 v12, 0, -1, vcc_lo
	v_cmp_le_u32_e32 vcc_lo, s15, v3
	v_cndmask_b32_e64 v13, 0, -1, vcc_lo
	v_cmp_le_u32_e32 vcc_lo, s14, v9
	;; [unrolled: 2-line block ×3, first 2 shown]
	v_cndmask_b32_e64 v17, 0, -1, vcc_lo
	v_cmp_eq_u32_e32 vcc_lo, s15, v3
	v_cndmask_b32_e32 v3, v13, v12, vcc_lo
	v_cmp_eq_u32_e32 vcc_lo, s15, v16
	v_add_nc_u64_e32 v[12:13], 2, v[10:11]
	v_cndmask_b32_e32 v9, v17, v9, vcc_lo
	s_delay_alu instid0(VALU_DEP_4) | instskip(NEXT) | instid1(VALU_DEP_2)
	v_cmp_ne_u32_e32 vcc_lo, 0, v3
	v_cmp_ne_u32_e64 s2, 0, v9
	s_delay_alu instid0(VALU_DEP_4) | instskip(NEXT) | instid1(VALU_DEP_1)
	v_cndmask_b32_e32 v9, v14, v12, vcc_lo
	v_cndmask_b32_e64 v9, v10, v9, s2
	s_delay_alu instid0(VALU_DEP_1) | instskip(NEXT) | instid1(VALU_DEP_1)
	v_dual_cndmask_b32 v3, v15, v13, vcc_lo :: v_dual_bitop2_b32 v10, v9, v2 bitop3:0x14
	v_dual_cndmask_b32 v11, v11, v3, s2 :: v_dual_mov_b32 v3, v2
	s_delay_alu instid0(VALU_DEP_1) | instskip(NEXT) | instid1(VALU_DEP_1)
	v_xor_b32_e32 v11, v11, v2
	v_sub_nc_u64_e32 v[2:3], v[10:11], v[2:3]
.LBB12_7:
	s_and_not1_saveexec_b32 s2, s3
	s_cbranch_execz .LBB12_9
; %bb.8:
	v_cvt_f32_u32_e32 v2, s8
	s_sub_co_i32 s3, 0, s8
	s_delay_alu instid0(VALU_DEP_1) | instskip(SKIP_1) | instid1(TRANS32_DEP_1)
	v_rcp_iflag_f32_e32 v2, v2
	v_nop
	v_mul_f32_e32 v2, 0x4f7ffffe, v2
	s_delay_alu instid0(VALU_DEP_1) | instskip(NEXT) | instid1(VALU_DEP_1)
	v_cvt_u32_f32_e32 v2, v2
	v_mul_lo_u32 v3, s3, v2
	s_delay_alu instid0(VALU_DEP_1) | instskip(NEXT) | instid1(VALU_DEP_1)
	v_mul_hi_u32 v3, v2, v3
	v_add_nc_u32_e32 v2, v2, v3
	s_delay_alu instid0(VALU_DEP_1) | instskip(NEXT) | instid1(VALU_DEP_1)
	v_mul_hi_u32 v2, v6, v2
	v_mul_lo_u32 v3, v2, s8
	s_delay_alu instid0(VALU_DEP_1) | instskip(NEXT) | instid1(VALU_DEP_1)
	v_dual_add_nc_u32 v9, 1, v2 :: v_dual_sub_nc_u32 v3, v6, v3
	v_subrev_nc_u32_e32 v10, s8, v3
	v_cmp_le_u32_e32 vcc_lo, s8, v3
	s_delay_alu instid0(VALU_DEP_2) | instskip(NEXT) | instid1(VALU_DEP_1)
	v_dual_cndmask_b32 v3, v3, v10 :: v_dual_cndmask_b32 v2, v2, v9
	v_cmp_le_u32_e32 vcc_lo, s8, v3
	s_delay_alu instid0(VALU_DEP_2) | instskip(NEXT) | instid1(VALU_DEP_1)
	v_dual_add_nc_u32 v9, 1, v2 :: v_dual_mov_b32 v3, 0
	v_cndmask_b32_e32 v2, v2, v9, vcc_lo
.LBB12_9:
	s_or_b32 exec_lo, exec_lo, s2
	s_delay_alu instid0(VALU_DEP_1) | instskip(SKIP_2) | instid1(VALU_DEP_2)
	v_mul_u64_e32 v[10:11], s[8:9], v[2:3]
	s_mov_b32 s2, exec_lo
	v_mov_b32_e32 v12, 0
	v_sub_nc_u64_e32 v[6:7], v[6:7], v[10:11]
                                        ; implicit-def: $vgpr10_vgpr11
	s_delay_alu instid0(VALU_DEP_1) | instskip(NEXT) | instid1(VALU_DEP_1)
	v_or_b32_e32 v13, s11, v7
	v_cmpx_ne_u64_e32 0, v[12:13]
	s_xor_b32 s3, exec_lo, s2
	s_cbranch_execz .LBB12_11
; %bb.10:
	s_ashr_i32 s8, s11, 31
	s_mov_b32 s25, 0
	s_mov_b32 s9, s8
	v_dual_mov_b32 v17, v12 :: v_dual_ashrrev_i32 v10, 31, v7
	s_add_nc_u64 s[12:13], s[10:11], s[8:9]
	v_mov_b32_e32 v19, v12
	s_xor_b64 s[12:13], s[12:13], s[8:9]
	s_delay_alu instid0(VALU_DEP_2)
	v_mov_b32_e32 v11, v10
	s_cvt_f32_u32 s2, s12
	s_cvt_f32_u32 s9, s13
	s_sub_nc_u64 s[20:21], 0, s[12:13]
	v_mov_b32_e32 v25, v12
	v_add_nc_u64_e32 v[14:15], v[6:7], v[10:11]
	s_fmamk_f32 s2, s9, 0x4f800000, s2
	v_mov_b32_e32 v13, v12
	s_delay_alu instid0(SALU_CYCLE_2) | instskip(NEXT) | instid1(VALU_DEP_2)
	v_s_rcp_f32 s2, s2
	v_xor_b32_e32 v16, v14, v10
	s_delay_alu instid0(VALU_DEP_3) | instskip(SKIP_1) | instid1(TRANS32_DEP_1)
	v_xor_b32_e32 v18, v15, v10
	v_xor_b32_e32 v10, s8, v10
	s_mul_f32 s2, s2, 0x5f7ffffc
	s_delay_alu instid0(SALU_CYCLE_3) | instskip(NEXT) | instid1(SALU_CYCLE_3)
	s_mul_f32 s9, s2, 0x2f800000
	s_trunc_f32 s9, s9
	s_delay_alu instid0(SALU_CYCLE_3) | instskip(SKIP_1) | instid1(SALU_CYCLE_2)
	s_fmamk_f32 s2, s9, 0xcf800000, s2
	s_cvt_u32_f32 s15, s9
	s_cvt_u32_f32 s14, s2
	s_delay_alu instid0(SALU_CYCLE_3) | instskip(NEXT) | instid1(SALU_CYCLE_1)
	s_mul_u64 s[22:23], s[20:21], s[14:15]
	s_mul_hi_u32 s27, s14, s23
	s_mul_i32 s26, s14, s23
	s_mul_hi_u32 s24, s14, s22
	s_mul_i32 s9, s15, s22
	s_add_nc_u64 s[26:27], s[24:25], s[26:27]
	s_mul_hi_u32 s2, s15, s22
	s_mul_hi_u32 s28, s15, s23
	s_add_co_u32 s9, s26, s9
	s_add_co_ci_u32 s24, s27, s2
	s_mul_i32 s22, s15, s23
	s_add_co_ci_u32 s23, s28, 0
	s_delay_alu instid0(SALU_CYCLE_1) | instskip(NEXT) | instid1(SALU_CYCLE_1)
	s_add_nc_u64 s[22:23], s[24:25], s[22:23]
	s_add_co_u32 s14, s14, s22
	s_cselect_b32 s2, -1, 0
	s_delay_alu instid0(SALU_CYCLE_1) | instskip(SKIP_1) | instid1(SALU_CYCLE_1)
	s_cmp_lg_u32 s2, 0
	s_add_co_ci_u32 s15, s15, s23
	s_mul_u64 s[20:21], s[20:21], s[14:15]
	s_delay_alu instid0(SALU_CYCLE_1)
	s_mul_hi_u32 s23, s14, s21
	s_mul_i32 s22, s14, s21
	s_mul_hi_u32 s24, s14, s20
	s_mul_i32 s9, s15, s20
	s_add_nc_u64 s[22:23], s[24:25], s[22:23]
	s_mul_hi_u32 s2, s15, s20
	s_mul_hi_u32 s26, s15, s21
	s_add_co_u32 s9, s22, s9
	s_add_co_ci_u32 s24, s23, s2
	s_mul_i32 s20, s15, s21
	s_add_co_ci_u32 s21, s26, 0
	s_delay_alu instid0(SALU_CYCLE_1) | instskip(NEXT) | instid1(SALU_CYCLE_1)
	s_add_nc_u64 s[20:21], s[24:25], s[20:21]
	s_add_co_u32 s2, s14, s20
	s_cselect_b32 s9, -1, 0
	v_mul_hi_u32 v24, v16, s2
	s_cmp_lg_u32 s9, 0
	s_add_co_ci_u32 s24, s15, s21
	s_mov_b64 s[14:15], 0xffffffff
	v_mul_u64_e32 v[20:21], s[24:25], v[16:17]
	s_and_b64 s[14:15], s[2:3], s[14:15]
	v_mul_u64_e32 v[22:23], s[24:25], v[18:19]
	v_mul_u64_e32 v[14:15], s[14:15], v[18:19]
	s_delay_alu instid0(VALU_DEP_3) | instskip(NEXT) | instid1(VALU_DEP_1)
	v_add_nc_u64_e32 v[20:21], v[24:25], v[20:21]
	v_add_co_u32 v9, vcc_lo, v20, v14
	s_delay_alu instid0(VALU_DEP_2) | instskip(SKIP_1) | instid1(VALU_DEP_1)
	v_add_co_ci_u32_e32 v12, vcc_lo, v21, v15, vcc_lo
	v_add_co_ci_u32_e32 v23, vcc_lo, 0, v23, vcc_lo
	v_add_nc_u64_e32 v[12:13], v[12:13], v[22:23]
	s_delay_alu instid0(VALU_DEP_1) | instskip(NEXT) | instid1(VALU_DEP_1)
	v_mul_u64_e32 v[14:15], s[12:13], v[12:13]
	v_sub_co_u32 v11, vcc_lo, v16, v14
	v_add_nc_u64_e32 v[16:17], 1, v[12:13]
	s_delay_alu instid0(VALU_DEP_3) | instskip(SKIP_1) | instid1(VALU_DEP_4)
	v_sub_nc_u32_e32 v9, v18, v15
	v_sub_co_ci_u32_e64 v18, null, v18, v15, vcc_lo
	v_sub_co_u32 v14, s2, v11, s12
	s_delay_alu instid0(VALU_DEP_3) | instskip(NEXT) | instid1(VALU_DEP_2)
	v_subrev_co_ci_u32_e64 v9, null, s13, v9, vcc_lo
	v_cmp_le_u32_e32 vcc_lo, s12, v14
	s_delay_alu instid0(VALU_DEP_2) | instskip(SKIP_1) | instid1(VALU_DEP_2)
	v_subrev_co_ci_u32_e64 v9, null, 0, v9, s2
	v_cndmask_b32_e64 v14, 0, -1, vcc_lo
	v_cmp_le_u32_e32 vcc_lo, s13, v9
	v_cndmask_b32_e64 v15, 0, -1, vcc_lo
	v_cmp_le_u32_e32 vcc_lo, s12, v11
	v_cndmask_b32_e64 v11, 0, -1, vcc_lo
	v_cmp_le_u32_e32 vcc_lo, s13, v18
	v_cndmask_b32_e64 v19, 0, -1, vcc_lo
	v_cmp_eq_u32_e32 vcc_lo, s13, v9
	v_cndmask_b32_e32 v9, v15, v14, vcc_lo
	v_cmp_eq_u32_e32 vcc_lo, s13, v18
	v_add_nc_u64_e32 v[14:15], 2, v[12:13]
	v_cndmask_b32_e32 v11, v19, v11, vcc_lo
	s_delay_alu instid0(VALU_DEP_4) | instskip(NEXT) | instid1(VALU_DEP_2)
	v_cmp_ne_u32_e32 vcc_lo, 0, v9
	v_cmp_ne_u32_e64 s2, 0, v11
	s_delay_alu instid0(VALU_DEP_4) | instskip(NEXT) | instid1(VALU_DEP_1)
	v_dual_cndmask_b32 v9, v17, v15, vcc_lo :: v_dual_cndmask_b32 v11, v16, v14, vcc_lo
	v_dual_cndmask_b32 v12, v12, v11, s2 :: v_dual_mov_b32 v11, v10
	s_delay_alu instid0(VALU_DEP_1) | instskip(NEXT) | instid1(VALU_DEP_1)
	v_dual_cndmask_b32 v9, v13, v9, s2 :: v_dual_bitop2_b32 v12, v12, v10 bitop3:0x14
	v_xor_b32_e32 v13, v9, v10
	s_delay_alu instid0(VALU_DEP_1)
	v_sub_nc_u64_e32 v[10:11], v[12:13], v[10:11]
.LBB12_11:
	s_and_not1_saveexec_b32 s2, s3
	s_cbranch_execz .LBB12_13
; %bb.12:
	v_cvt_f32_u32_e32 v9, s10
	s_sub_co_i32 s3, 0, s10
	s_delay_alu instid0(VALU_DEP_1) | instskip(SKIP_1) | instid1(TRANS32_DEP_1)
	v_rcp_iflag_f32_e32 v9, v9
	v_nop
	v_mul_f32_e32 v9, 0x4f7ffffe, v9
	s_delay_alu instid0(VALU_DEP_1) | instskip(NEXT) | instid1(VALU_DEP_1)
	v_cvt_u32_f32_e32 v9, v9
	v_mul_lo_u32 v10, s3, v9
	s_delay_alu instid0(VALU_DEP_1) | instskip(NEXT) | instid1(VALU_DEP_1)
	v_mul_hi_u32 v10, v9, v10
	v_add_nc_u32_e32 v9, v9, v10
	s_delay_alu instid0(VALU_DEP_1) | instskip(NEXT) | instid1(VALU_DEP_1)
	v_mul_hi_u32 v9, v6, v9
	v_mul_lo_u32 v10, v9, s10
	s_delay_alu instid0(VALU_DEP_1) | instskip(NEXT) | instid1(VALU_DEP_1)
	v_dual_add_nc_u32 v11, 1, v9 :: v_dual_sub_nc_u32 v10, v6, v10
	v_subrev_nc_u32_e32 v12, s10, v10
	v_cmp_le_u32_e32 vcc_lo, s10, v10
	s_delay_alu instid0(VALU_DEP_2) | instskip(NEXT) | instid1(VALU_DEP_1)
	v_dual_cndmask_b32 v10, v10, v12 :: v_dual_cndmask_b32 v9, v9, v11
	v_cmp_le_u32_e32 vcc_lo, s10, v10
	s_delay_alu instid0(VALU_DEP_2) | instskip(NEXT) | instid1(VALU_DEP_1)
	v_add_nc_u32_e32 v11, 1, v9
	v_dual_cndmask_b32 v10, v9, v11 :: v_dual_mov_b32 v11, 0
.LBB12_13:
	s_or_b32 exec_lo, exec_lo, s2
	s_load_b512 s[36:51], s[0:1], 0x40
                                        ; implicit-def: $vgpr12_vgpr13
	s_mov_b32 s2, exec_lo
	v_mov_b32_e32 v14, 0
	s_wait_kmcnt 0x0
	s_mul_u64 s[8:9], s[42:43], s[40:41]
	s_delay_alu instid0(SALU_CYCLE_1) | instskip(NEXT) | instid1(SALU_CYCLE_1)
	s_mul_u64 s[12:13], s[8:9], s[44:45]
	v_or_b32_e32 v15, s13, v5
	s_delay_alu instid0(VALU_DEP_1)
	v_cmpx_ne_u64_e32 0, v[14:15]
	s_xor_b32 s3, exec_lo, s2
	s_cbranch_execz .LBB12_15
; %bb.14:
	s_ashr_i32 s14, s13, 31
	s_mov_b32 s29, 0
	s_mov_b32 s15, s14
	v_dual_mov_b32 v9, v8 :: v_dual_mov_b32 v17, v14
	s_add_nc_u64 s[20:21], s[12:13], s[14:15]
	v_mov_b32_e32 v15, v14
	s_xor_b64 s[20:21], s[20:21], s[14:15]
	s_delay_alu instid0(VALU_DEP_2) | instskip(SKIP_4) | instid1(SALU_CYCLE_1)
	v_add_nc_u64_e32 v[12:13], v[4:5], v[8:9]
	s_cvt_f32_u32 s2, s20
	s_cvt_f32_u32 s15, s21
	s_sub_nc_u64 s[24:25], 0, s[20:21]
	v_dual_mov_b32 v19, v14 :: v_dual_mov_b32 v25, v14
	s_fmamk_f32 s2, s15, 0x4f800000, s2
	s_delay_alu instid0(VALU_DEP_2) | instskip(SKIP_3) | instid1(TRANS32_DEP_1)
	v_xor_b32_e32 v16, v12, v8
	v_xor_b32_e32 v18, v13, v8
	;; [unrolled: 1-line block ×3, first 2 shown]
	v_s_rcp_f32 s2, s2
	s_mul_f32 s2, s2, 0x5f7ffffc
	s_delay_alu instid0(SALU_CYCLE_3) | instskip(NEXT) | instid1(SALU_CYCLE_3)
	s_mul_f32 s15, s2, 0x2f800000
	s_trunc_f32 s15, s15
	s_delay_alu instid0(SALU_CYCLE_3) | instskip(SKIP_1) | instid1(SALU_CYCLE_2)
	s_fmamk_f32 s2, s15, 0xcf800000, s2
	s_cvt_u32_f32 s23, s15
	s_cvt_u32_f32 s22, s2
	s_delay_alu instid0(SALU_CYCLE_3) | instskip(NEXT) | instid1(SALU_CYCLE_1)
	s_mul_u64 s[26:27], s[24:25], s[22:23]
	s_mul_hi_u32 s31, s22, s27
	s_mul_i32 s30, s22, s27
	s_mul_hi_u32 s28, s22, s26
	s_mul_i32 s15, s23, s26
	s_add_nc_u64 s[30:31], s[28:29], s[30:31]
	s_mul_hi_u32 s2, s23, s26
	s_mul_hi_u32 s33, s23, s27
	s_add_co_u32 s15, s30, s15
	s_add_co_ci_u32 s28, s31, s2
	s_mul_i32 s26, s23, s27
	s_add_co_ci_u32 s27, s33, 0
	s_delay_alu instid0(SALU_CYCLE_1) | instskip(NEXT) | instid1(SALU_CYCLE_1)
	s_add_nc_u64 s[26:27], s[28:29], s[26:27]
	s_add_co_u32 s22, s22, s26
	s_cselect_b32 s2, -1, 0
	s_delay_alu instid0(SALU_CYCLE_1) | instskip(SKIP_1) | instid1(SALU_CYCLE_1)
	s_cmp_lg_u32 s2, 0
	s_add_co_ci_u32 s23, s23, s27
	s_mul_u64 s[24:25], s[24:25], s[22:23]
	s_delay_alu instid0(SALU_CYCLE_1)
	s_mul_hi_u32 s27, s22, s25
	s_mul_i32 s26, s22, s25
	s_mul_hi_u32 s28, s22, s24
	s_mul_i32 s15, s23, s24
	s_add_nc_u64 s[26:27], s[28:29], s[26:27]
	s_mul_hi_u32 s2, s23, s24
	s_mul_hi_u32 s30, s23, s25
	s_add_co_u32 s15, s26, s15
	s_add_co_ci_u32 s28, s27, s2
	s_mul_i32 s24, s23, s25
	s_add_co_ci_u32 s25, s30, 0
	s_delay_alu instid0(SALU_CYCLE_1) | instskip(NEXT) | instid1(SALU_CYCLE_1)
	s_add_nc_u64 s[24:25], s[28:29], s[24:25]
	s_add_co_u32 s2, s22, s24
	s_cselect_b32 s15, -1, 0
	v_nop
	v_mul_hi_u32 v24, v16, s2
	s_cmp_lg_u32 s15, 0
	s_add_co_ci_u32 s28, s23, s25
	s_mov_b64 s[22:23], 0xffffffff
	v_mul_u64_e32 v[20:21], s[28:29], v[16:17]
	s_and_b64 s[22:23], s[2:3], s[22:23]
	v_mul_u64_e32 v[22:23], s[28:29], v[18:19]
	v_mul_u64_e32 v[12:13], s[22:23], v[18:19]
	s_delay_alu instid0(VALU_DEP_3) | instskip(NEXT) | instid1(VALU_DEP_1)
	v_add_nc_u64_e32 v[20:21], v[24:25], v[20:21]
	v_add_co_u32 v9, vcc_lo, v20, v12
	s_delay_alu instid0(VALU_DEP_2) | instskip(SKIP_1) | instid1(VALU_DEP_1)
	v_add_co_ci_u32_e32 v14, vcc_lo, v21, v13, vcc_lo
	v_add_co_ci_u32_e32 v23, vcc_lo, 0, v23, vcc_lo
	v_add_nc_u64_e32 v[12:13], v[14:15], v[22:23]
	s_delay_alu instid0(VALU_DEP_1) | instskip(NEXT) | instid1(VALU_DEP_1)
	v_mul_u64_e32 v[14:15], s[20:21], v[12:13]
	v_sub_nc_u32_e32 v9, v18, v15
	s_delay_alu instid0(VALU_DEP_2) | instskip(NEXT) | instid1(VALU_DEP_1)
	v_sub_co_u32 v14, vcc_lo, v16, v14
	v_sub_co_ci_u32_e64 v18, null, v18, v15, vcc_lo
	s_delay_alu instid0(VALU_DEP_3) | instskip(NEXT) | instid1(VALU_DEP_3)
	v_subrev_co_ci_u32_e64 v9, null, s21, v9, vcc_lo
	v_sub_co_u32 v16, s2, v14, s20
	s_delay_alu instid0(VALU_DEP_1) | instskip(NEXT) | instid1(VALU_DEP_2)
	v_subrev_co_ci_u32_e64 v9, null, 0, v9, s2
	v_cmp_le_u32_e32 vcc_lo, s20, v16
	v_cndmask_b32_e64 v15, 0, -1, vcc_lo
	s_delay_alu instid0(VALU_DEP_3)
	v_cmp_le_u32_e32 vcc_lo, s21, v9
	v_cndmask_b32_e64 v16, 0, -1, vcc_lo
	v_cmp_le_u32_e32 vcc_lo, s20, v14
	v_cndmask_b32_e64 v19, 0, -1, vcc_lo
	v_cmp_le_u32_e32 vcc_lo, s21, v18
	v_cndmask_b32_e64 v20, 0, -1, vcc_lo
	v_cmp_eq_u32_e32 vcc_lo, s21, v9
	v_cndmask_b32_e32 v9, v16, v15, vcc_lo
	v_cmp_eq_u32_e32 vcc_lo, s21, v18
	v_add_nc_u64_e32 v[14:15], 2, v[12:13]
	v_add_nc_u64_e32 v[16:17], 1, v[12:13]
	v_cndmask_b32_e32 v18, v20, v19, vcc_lo
	v_cmp_ne_u32_e32 vcc_lo, 0, v9
	s_delay_alu instid0(VALU_DEP_2) | instskip(NEXT) | instid1(VALU_DEP_4)
	v_cmp_ne_u32_e64 s2, 0, v18
	v_dual_cndmask_b32 v14, v16, v14 :: v_dual_cndmask_b32 v9, v17, v15
	s_delay_alu instid0(VALU_DEP_1) | instskip(SKIP_1) | instid1(VALU_DEP_2)
	v_dual_cndmask_b32 v12, v12, v14, s2 :: v_dual_cndmask_b32 v13, v13, v9, s2
	v_mov_b32_e32 v9, v8
	v_xor_b32_e32 v12, v12, v8
	s_delay_alu instid0(VALU_DEP_3) | instskip(NEXT) | instid1(VALU_DEP_1)
	v_xor_b32_e32 v13, v13, v8
	v_sub_nc_u64_e32 v[12:13], v[12:13], v[8:9]
.LBB12_15:
	s_and_not1_saveexec_b32 s2, s3
	s_cbranch_execz .LBB12_17
; %bb.16:
	v_cvt_f32_u32_e32 v8, s12
	s_sub_co_i32 s3, 0, s12
	s_delay_alu instid0(VALU_DEP_1) | instskip(SKIP_1) | instid1(TRANS32_DEP_1)
	v_rcp_iflag_f32_e32 v8, v8
	v_nop
	v_mul_f32_e32 v8, 0x4f7ffffe, v8
	s_delay_alu instid0(VALU_DEP_1) | instskip(NEXT) | instid1(VALU_DEP_1)
	v_cvt_u32_f32_e32 v8, v8
	v_mul_lo_u32 v9, s3, v8
	s_delay_alu instid0(VALU_DEP_1) | instskip(NEXT) | instid1(VALU_DEP_1)
	v_mul_hi_u32 v9, v8, v9
	v_add_nc_u32_e32 v8, v8, v9
	s_delay_alu instid0(VALU_DEP_1) | instskip(NEXT) | instid1(VALU_DEP_1)
	v_mul_hi_u32 v8, v4, v8
	v_mul_lo_u32 v9, v8, s12
	s_delay_alu instid0(VALU_DEP_1) | instskip(NEXT) | instid1(VALU_DEP_1)
	v_sub_nc_u32_e32 v9, v4, v9
	v_subrev_nc_u32_e32 v13, s12, v9
	v_cmp_le_u32_e32 vcc_lo, s12, v9
	s_delay_alu instid0(VALU_DEP_2) | instskip(NEXT) | instid1(VALU_DEP_1)
	v_dual_cndmask_b32 v9, v9, v13 :: v_dual_add_nc_u32 v12, 1, v8
	v_dual_cndmask_b32 v8, v8, v12 :: v_dual_mov_b32 v13, 0
	s_delay_alu instid0(VALU_DEP_2) | instskip(NEXT) | instid1(VALU_DEP_2)
	v_cmp_le_u32_e32 vcc_lo, s12, v9
	v_add_nc_u32_e32 v12, 1, v8
	s_delay_alu instid0(VALU_DEP_1)
	v_cndmask_b32_e32 v12, v8, v12, vcc_lo
.LBB12_17:
	s_or_b32 exec_lo, exec_lo, s2
	s_delay_alu instid0(VALU_DEP_1) | instskip(SKIP_2) | instid1(VALU_DEP_2)
	v_mul_u64_e32 v[8:9], s[12:13], v[12:13]
	s_mov_b32 s2, exec_lo
	v_mov_b32_e32 v14, 0
	v_sub_nc_u64_e32 v[8:9], v[4:5], v[8:9]
                                        ; implicit-def: $vgpr4_vgpr5
	s_delay_alu instid0(VALU_DEP_1) | instskip(NEXT) | instid1(VALU_DEP_1)
	v_or_b32_e32 v15, s9, v9
	v_cmpx_ne_u64_e32 0, v[14:15]
	s_xor_b32 s3, exec_lo, s2
	s_cbranch_execz .LBB12_19
; %bb.18:
	s_ashr_i32 s12, s9, 31
	s_mov_b32 s27, 0
	s_mov_b32 s13, s12
	v_dual_mov_b32 v19, v14 :: v_dual_ashrrev_i32 v4, 31, v9
	s_add_nc_u64 s[14:15], s[8:9], s[12:13]
	v_mov_b32_e32 v21, v14
	s_xor_b64 s[14:15], s[14:15], s[12:13]
	s_delay_alu instid0(VALU_DEP_2)
	v_mov_b32_e32 v5, v4
	s_cvt_f32_u32 s2, s14
	s_cvt_f32_u32 s13, s15
	s_sub_nc_u64 s[22:23], 0, s[14:15]
	v_mov_b32_e32 v27, v14
	v_add_nc_u64_e32 v[16:17], v[8:9], v[4:5]
	s_fmamk_f32 s2, s13, 0x4f800000, s2
	v_mov_b32_e32 v15, v14
	s_delay_alu instid0(SALU_CYCLE_2) | instskip(NEXT) | instid1(VALU_DEP_2)
	v_s_rcp_f32 s2, s2
	v_xor_b32_e32 v18, v16, v4
	s_delay_alu instid0(VALU_DEP_3) | instskip(SKIP_1) | instid1(TRANS32_DEP_1)
	v_xor_b32_e32 v20, v17, v4
	v_xor_b32_e32 v4, s12, v4
	s_mul_f32 s2, s2, 0x5f7ffffc
	s_delay_alu instid0(SALU_CYCLE_3) | instskip(NEXT) | instid1(SALU_CYCLE_3)
	s_mul_f32 s13, s2, 0x2f800000
	s_trunc_f32 s13, s13
	s_delay_alu instid0(SALU_CYCLE_3) | instskip(SKIP_1) | instid1(SALU_CYCLE_2)
	s_fmamk_f32 s2, s13, 0xcf800000, s2
	s_cvt_u32_f32 s21, s13
	s_cvt_u32_f32 s20, s2
	s_delay_alu instid0(SALU_CYCLE_3) | instskip(NEXT) | instid1(SALU_CYCLE_1)
	s_mul_u64 s[24:25], s[22:23], s[20:21]
	s_mul_hi_u32 s29, s20, s25
	s_mul_i32 s28, s20, s25
	s_mul_hi_u32 s26, s20, s24
	s_mul_i32 s13, s21, s24
	s_add_nc_u64 s[28:29], s[26:27], s[28:29]
	s_mul_hi_u32 s2, s21, s24
	s_mul_hi_u32 s30, s21, s25
	s_add_co_u32 s13, s28, s13
	s_add_co_ci_u32 s26, s29, s2
	s_mul_i32 s24, s21, s25
	s_add_co_ci_u32 s25, s30, 0
	s_delay_alu instid0(SALU_CYCLE_1) | instskip(NEXT) | instid1(SALU_CYCLE_1)
	s_add_nc_u64 s[24:25], s[26:27], s[24:25]
	s_add_co_u32 s20, s20, s24
	s_cselect_b32 s2, -1, 0
	s_delay_alu instid0(SALU_CYCLE_1) | instskip(SKIP_1) | instid1(SALU_CYCLE_1)
	s_cmp_lg_u32 s2, 0
	s_add_co_ci_u32 s21, s21, s25
	s_mul_u64 s[22:23], s[22:23], s[20:21]
	s_delay_alu instid0(SALU_CYCLE_1)
	s_mul_hi_u32 s25, s20, s23
	s_mul_i32 s24, s20, s23
	s_mul_hi_u32 s26, s20, s22
	s_mul_i32 s13, s21, s22
	s_add_nc_u64 s[24:25], s[26:27], s[24:25]
	s_mul_hi_u32 s2, s21, s22
	s_mul_hi_u32 s28, s21, s23
	s_add_co_u32 s13, s24, s13
	s_add_co_ci_u32 s26, s25, s2
	s_mul_i32 s22, s21, s23
	s_add_co_ci_u32 s23, s28, 0
	s_delay_alu instid0(SALU_CYCLE_1) | instskip(NEXT) | instid1(SALU_CYCLE_1)
	s_add_nc_u64 s[22:23], s[26:27], s[22:23]
	s_add_co_u32 s2, s20, s22
	s_cselect_b32 s13, -1, 0
	v_mul_hi_u32 v26, v18, s2
	s_cmp_lg_u32 s13, 0
	s_add_co_ci_u32 s26, s21, s23
	s_mov_b64 s[20:21], 0xffffffff
	v_mul_u64_e32 v[22:23], s[26:27], v[18:19]
	s_and_b64 s[20:21], s[2:3], s[20:21]
	v_mul_u64_e32 v[24:25], s[26:27], v[20:21]
	v_mul_u64_e32 v[16:17], s[20:21], v[20:21]
	s_delay_alu instid0(VALU_DEP_3) | instskip(NEXT) | instid1(VALU_DEP_1)
	v_add_nc_u64_e32 v[22:23], v[26:27], v[22:23]
	v_add_co_u32 v5, vcc_lo, v22, v16
	s_delay_alu instid0(VALU_DEP_2) | instskip(SKIP_1) | instid1(VALU_DEP_1)
	v_add_co_ci_u32_e32 v14, vcc_lo, v23, v17, vcc_lo
	v_add_co_ci_u32_e32 v25, vcc_lo, 0, v25, vcc_lo
	v_add_nc_u64_e32 v[14:15], v[14:15], v[24:25]
	s_delay_alu instid0(VALU_DEP_1) | instskip(NEXT) | instid1(VALU_DEP_1)
	v_mul_u64_e32 v[16:17], s[14:15], v[14:15]
	v_sub_nc_u32_e32 v5, v20, v17
	s_delay_alu instid0(VALU_DEP_2) | instskip(NEXT) | instid1(VALU_DEP_1)
	v_sub_co_u32 v16, vcc_lo, v18, v16
	v_sub_co_ci_u32_e64 v20, null, v20, v17, vcc_lo
	s_delay_alu instid0(VALU_DEP_3) | instskip(NEXT) | instid1(VALU_DEP_3)
	v_subrev_co_ci_u32_e64 v5, null, s15, v5, vcc_lo
	v_sub_co_u32 v18, s2, v16, s14
	s_delay_alu instid0(VALU_DEP_1) | instskip(NEXT) | instid1(VALU_DEP_2)
	v_subrev_co_ci_u32_e64 v5, null, 0, v5, s2
	v_cmp_le_u32_e32 vcc_lo, s14, v18
	v_cndmask_b32_e64 v17, 0, -1, vcc_lo
	s_delay_alu instid0(VALU_DEP_3)
	v_cmp_le_u32_e32 vcc_lo, s15, v5
	v_cndmask_b32_e64 v18, 0, -1, vcc_lo
	v_cmp_le_u32_e32 vcc_lo, s14, v16
	v_cndmask_b32_e64 v21, 0, -1, vcc_lo
	;; [unrolled: 2-line block ×3, first 2 shown]
	v_cmp_eq_u32_e32 vcc_lo, s15, v5
	v_cndmask_b32_e32 v5, v18, v17, vcc_lo
	v_cmp_eq_u32_e32 vcc_lo, s15, v20
	v_add_nc_u64_e32 v[16:17], 2, v[14:15]
	v_add_nc_u64_e32 v[18:19], 1, v[14:15]
	v_cndmask_b32_e32 v20, v22, v21, vcc_lo
	v_cmp_ne_u32_e32 vcc_lo, 0, v5
	s_delay_alu instid0(VALU_DEP_2) | instskip(NEXT) | instid1(VALU_DEP_4)
	v_cmp_ne_u32_e64 s2, 0, v20
	v_dual_cndmask_b32 v16, v18, v16 :: v_dual_cndmask_b32 v5, v19, v17
	s_delay_alu instid0(VALU_DEP_1) | instskip(NEXT) | instid1(VALU_DEP_1)
	v_dual_cndmask_b32 v14, v14, v16, s2 :: v_dual_cndmask_b32 v15, v15, v5, s2
	v_dual_mov_b32 v5, v4 :: v_dual_bitop2_b32 v14, v14, v4 bitop3:0x14
	s_delay_alu instid0(VALU_DEP_2) | instskip(NEXT) | instid1(VALU_DEP_1)
	v_xor_b32_e32 v15, v15, v4
	v_sub_nc_u64_e32 v[4:5], v[14:15], v[4:5]
.LBB12_19:
	s_and_not1_saveexec_b32 s2, s3
	s_cbranch_execz .LBB12_21
; %bb.20:
	v_cvt_f32_u32_e32 v4, s8
	s_sub_co_i32 s3, 0, s8
	s_delay_alu instid0(VALU_DEP_1) | instskip(SKIP_1) | instid1(TRANS32_DEP_1)
	v_rcp_iflag_f32_e32 v4, v4
	v_nop
	v_mul_f32_e32 v4, 0x4f7ffffe, v4
	s_delay_alu instid0(VALU_DEP_1) | instskip(NEXT) | instid1(VALU_DEP_1)
	v_cvt_u32_f32_e32 v4, v4
	v_mul_lo_u32 v5, s3, v4
	s_delay_alu instid0(VALU_DEP_1) | instskip(NEXT) | instid1(VALU_DEP_1)
	v_mul_hi_u32 v5, v4, v5
	v_add_nc_u32_e32 v4, v4, v5
	s_delay_alu instid0(VALU_DEP_1) | instskip(NEXT) | instid1(VALU_DEP_1)
	v_mul_hi_u32 v4, v8, v4
	v_mul_lo_u32 v5, v4, s8
	s_delay_alu instid0(VALU_DEP_1) | instskip(NEXT) | instid1(VALU_DEP_1)
	v_dual_add_nc_u32 v14, 1, v4 :: v_dual_sub_nc_u32 v5, v8, v5
	v_subrev_nc_u32_e32 v15, s8, v5
	v_cmp_le_u32_e32 vcc_lo, s8, v5
	s_delay_alu instid0(VALU_DEP_2) | instskip(NEXT) | instid1(VALU_DEP_1)
	v_dual_cndmask_b32 v5, v5, v15 :: v_dual_cndmask_b32 v4, v4, v14
	v_cmp_le_u32_e32 vcc_lo, s8, v5
	s_delay_alu instid0(VALU_DEP_2) | instskip(NEXT) | instid1(VALU_DEP_1)
	v_dual_mov_b32 v5, 0 :: v_dual_add_nc_u32 v14, 1, v4
	v_cndmask_b32_e32 v4, v4, v14, vcc_lo
.LBB12_21:
	s_or_b32 exec_lo, exec_lo, s2
	s_delay_alu instid0(VALU_DEP_1) | instskip(SKIP_1) | instid1(VALU_DEP_1)
	v_mul_u64_e32 v[14:15], s[8:9], v[4:5]
                                        ; implicit-def: $vgpr16_vgpr17
	s_mov_b32 s2, exec_lo
	v_sub_nc_u64_e32 v[8:9], v[8:9], v[14:15]
	s_delay_alu instid0(VALU_DEP_1) | instskip(NEXT) | instid1(VALU_DEP_1)
	v_dual_mov_b32 v14, 0 :: v_dual_bitop2_b32 v15, s41, v9 bitop3:0x54
	v_cmpx_ne_u64_e32 0, v[14:15]
	s_xor_b32 s3, exec_lo, s2
	s_cbranch_execz .LBB12_23
; %bb.22:
	s_ashr_i32 s8, s41, 31
	s_mov_b32 s25, 0
	s_mov_b32 s9, s8
	v_dual_mov_b32 v21, v14 :: v_dual_ashrrev_i32 v16, 31, v9
	s_add_nc_u64 s[12:13], s[40:41], s[8:9]
	v_dual_mov_b32 v29, v14 :: v_dual_mov_b32 v15, v14
	s_xor_b64 s[12:13], s[12:13], s[8:9]
	s_delay_alu instid0(VALU_DEP_2) | instskip(SKIP_3) | instid1(VALU_DEP_1)
	v_mov_b32_e32 v17, v16
	s_cvt_f32_u32 s2, s12
	s_cvt_f32_u32 s9, s13
	s_sub_nc_u64 s[20:21], 0, s[12:13]
	v_add_nc_u64_e32 v[18:19], v[8:9], v[16:17]
	s_delay_alu instid0(SALU_CYCLE_1) | instskip(SKIP_1) | instid1(SALU_CYCLE_2)
	s_fmamk_f32 s2, s9, 0x4f800000, s2
	v_mov_b32_e32 v23, v14
	v_s_rcp_f32 s2, s2
	s_delay_alu instid0(VALU_DEP_2) | instskip(NEXT) | instid1(VALU_DEP_3)
	v_xor_b32_e32 v20, v18, v16
	v_xor_b32_e32 v22, v19, v16
	;; [unrolled: 1-line block ×3, first 2 shown]
	s_delay_alu instid0(TRANS32_DEP_1) | instskip(NEXT) | instid1(SALU_CYCLE_3)
	s_mul_f32 s2, s2, 0x5f7ffffc
	s_mul_f32 s9, s2, 0x2f800000
	s_delay_alu instid0(SALU_CYCLE_3) | instskip(NEXT) | instid1(SALU_CYCLE_3)
	s_trunc_f32 s9, s9
	s_fmamk_f32 s2, s9, 0xcf800000, s2
	s_cvt_u32_f32 s15, s9
	s_delay_alu instid0(SALU_CYCLE_2) | instskip(NEXT) | instid1(SALU_CYCLE_3)
	s_cvt_u32_f32 s14, s2
	s_mul_u64 s[22:23], s[20:21], s[14:15]
	s_delay_alu instid0(SALU_CYCLE_1)
	s_mul_hi_u32 s27, s14, s23
	s_mul_i32 s26, s14, s23
	s_mul_hi_u32 s24, s14, s22
	s_mul_i32 s9, s15, s22
	s_add_nc_u64 s[26:27], s[24:25], s[26:27]
	s_mul_hi_u32 s2, s15, s22
	s_mul_hi_u32 s28, s15, s23
	s_add_co_u32 s9, s26, s9
	s_add_co_ci_u32 s24, s27, s2
	s_mul_i32 s22, s15, s23
	s_add_co_ci_u32 s23, s28, 0
	s_delay_alu instid0(SALU_CYCLE_1) | instskip(NEXT) | instid1(SALU_CYCLE_1)
	s_add_nc_u64 s[22:23], s[24:25], s[22:23]
	s_add_co_u32 s14, s14, s22
	s_cselect_b32 s2, -1, 0
	s_delay_alu instid0(SALU_CYCLE_1) | instskip(SKIP_1) | instid1(SALU_CYCLE_1)
	s_cmp_lg_u32 s2, 0
	s_add_co_ci_u32 s15, s15, s23
	s_mul_u64 s[20:21], s[20:21], s[14:15]
	s_delay_alu instid0(SALU_CYCLE_1)
	s_mul_hi_u32 s23, s14, s21
	s_mul_i32 s22, s14, s21
	s_mul_hi_u32 s24, s14, s20
	s_mul_i32 s9, s15, s20
	s_add_nc_u64 s[22:23], s[24:25], s[22:23]
	s_mul_hi_u32 s2, s15, s20
	s_mul_hi_u32 s26, s15, s21
	s_add_co_u32 s9, s22, s9
	s_add_co_ci_u32 s24, s23, s2
	s_mul_i32 s20, s15, s21
	s_add_co_ci_u32 s21, s26, 0
	s_delay_alu instid0(SALU_CYCLE_1) | instskip(NEXT) | instid1(SALU_CYCLE_1)
	s_add_nc_u64 s[20:21], s[24:25], s[20:21]
	s_add_co_u32 s2, s14, s20
	s_cselect_b32 s9, -1, 0
	v_mul_hi_u32 v28, v20, s2
	s_cmp_lg_u32 s9, 0
	s_add_co_ci_u32 s24, s15, s21
	s_mov_b64 s[14:15], 0xffffffff
	v_mul_u64_e32 v[24:25], s[24:25], v[20:21]
	s_and_b64 s[14:15], s[2:3], s[14:15]
	v_mul_u64_e32 v[26:27], s[24:25], v[22:23]
	v_mul_u64_e32 v[18:19], s[14:15], v[22:23]
	s_delay_alu instid0(VALU_DEP_3) | instskip(NEXT) | instid1(VALU_DEP_1)
	v_add_nc_u64_e32 v[24:25], v[28:29], v[24:25]
	v_add_co_u32 v14, vcc_lo, v24, v18
	s_delay_alu instid0(VALU_DEP_2) | instskip(SKIP_1) | instid1(VALU_DEP_1)
	v_add_co_ci_u32_e32 v14, vcc_lo, v25, v19, vcc_lo
	v_add_co_ci_u32_e32 v27, vcc_lo, 0, v27, vcc_lo
	v_add_nc_u64_e32 v[14:15], v[14:15], v[26:27]
	s_delay_alu instid0(VALU_DEP_1) | instskip(NEXT) | instid1(VALU_DEP_1)
	v_mul_u64_e32 v[18:19], s[12:13], v[14:15]
	v_sub_nc_u32_e32 v17, v22, v19
	s_delay_alu instid0(VALU_DEP_2) | instskip(NEXT) | instid1(VALU_DEP_1)
	v_sub_co_u32 v18, vcc_lo, v20, v18
	v_sub_co_ci_u32_e64 v22, null, v22, v19, vcc_lo
	s_delay_alu instid0(VALU_DEP_3) | instskip(NEXT) | instid1(VALU_DEP_3)
	v_subrev_co_ci_u32_e64 v17, null, s13, v17, vcc_lo
	v_sub_co_u32 v20, s2, v18, s12
	s_delay_alu instid0(VALU_DEP_1) | instskip(NEXT) | instid1(VALU_DEP_2)
	v_subrev_co_ci_u32_e64 v17, null, 0, v17, s2
	v_cmp_le_u32_e32 vcc_lo, s12, v20
	v_cndmask_b32_e64 v19, 0, -1, vcc_lo
	s_delay_alu instid0(VALU_DEP_3)
	v_cmp_le_u32_e32 vcc_lo, s13, v17
	v_cndmask_b32_e64 v20, 0, -1, vcc_lo
	v_cmp_le_u32_e32 vcc_lo, s12, v18
	v_cndmask_b32_e64 v23, 0, -1, vcc_lo
	;; [unrolled: 2-line block ×3, first 2 shown]
	v_cmp_eq_u32_e32 vcc_lo, s13, v17
	v_cndmask_b32_e32 v17, v20, v19, vcc_lo
	v_cmp_eq_u32_e32 vcc_lo, s13, v22
	v_add_nc_u64_e32 v[18:19], 2, v[14:15]
	v_add_nc_u64_e32 v[20:21], 1, v[14:15]
	v_cndmask_b32_e32 v22, v24, v23, vcc_lo
	v_cmp_ne_u32_e32 vcc_lo, 0, v17
	s_delay_alu instid0(VALU_DEP_2) | instskip(NEXT) | instid1(VALU_DEP_4)
	v_cmp_ne_u32_e64 s2, 0, v22
	v_dual_cndmask_b32 v18, v20, v18 :: v_dual_cndmask_b32 v17, v21, v19
	s_delay_alu instid0(VALU_DEP_1) | instskip(NEXT) | instid1(VALU_DEP_1)
	v_dual_cndmask_b32 v14, v14, v18, s2 :: v_dual_cndmask_b32 v15, v15, v17, s2
	v_dual_mov_b32 v17, v16 :: v_dual_bitop2_b32 v14, v14, v16 bitop3:0x14
	s_delay_alu instid0(VALU_DEP_2) | instskip(NEXT) | instid1(VALU_DEP_1)
	v_xor_b32_e32 v15, v15, v16
	v_sub_nc_u64_e32 v[16:17], v[14:15], v[16:17]
.LBB12_23:
	s_and_not1_saveexec_b32 s2, s3
	s_cbranch_execz .LBB12_25
; %bb.24:
	v_cvt_f32_u32_e32 v14, s40
	s_sub_co_i32 s3, 0, s40
	s_delay_alu instid0(VALU_DEP_1) | instskip(SKIP_1) | instid1(TRANS32_DEP_1)
	v_rcp_iflag_f32_e32 v14, v14
	v_nop
	v_mul_f32_e32 v14, 0x4f7ffffe, v14
	s_delay_alu instid0(VALU_DEP_1) | instskip(NEXT) | instid1(VALU_DEP_1)
	v_cvt_u32_f32_e32 v14, v14
	v_mul_lo_u32 v15, s3, v14
	s_delay_alu instid0(VALU_DEP_1) | instskip(NEXT) | instid1(VALU_DEP_1)
	v_mul_hi_u32 v15, v14, v15
	v_add_nc_u32_e32 v14, v14, v15
	s_delay_alu instid0(VALU_DEP_1) | instskip(NEXT) | instid1(VALU_DEP_1)
	v_mul_hi_u32 v14, v8, v14
	v_mul_lo_u32 v15, v14, s40
	s_delay_alu instid0(VALU_DEP_1) | instskip(NEXT) | instid1(VALU_DEP_1)
	v_dual_add_nc_u32 v16, 1, v14 :: v_dual_sub_nc_u32 v15, v8, v15
	v_subrev_nc_u32_e32 v17, s40, v15
	v_cmp_le_u32_e32 vcc_lo, s40, v15
	s_delay_alu instid0(VALU_DEP_2) | instskip(NEXT) | instid1(VALU_DEP_4)
	v_dual_cndmask_b32 v15, v15, v17, vcc_lo :: v_dual_mov_b32 v17, 0
	v_cndmask_b32_e32 v14, v14, v16, vcc_lo
	s_delay_alu instid0(VALU_DEP_2) | instskip(NEXT) | instid1(VALU_DEP_2)
	v_cmp_le_u32_e32 vcc_lo, s40, v15
	v_add_nc_u32_e32 v16, 1, v14
	s_delay_alu instid0(VALU_DEP_1)
	v_cndmask_b32_e32 v16, v14, v16, vcc_lo
.LBB12_25:
	s_or_b32 exec_lo, exec_lo, s2
	v_mul_u64_e32 v[14:15], s[10:11], v[10:11]
	s_load_b64 s[0:1], s[0:1], 0x80
	s_delay_alu instid0(VALU_DEP_1) | instskip(NEXT) | instid1(VALU_DEP_1)
	v_sub_nc_u64_e32 v[6:7], v[6:7], v[14:15]
	v_mad_nc_u64_u32 v[14:15], v6, s16, s[4:5]
	s_delay_alu instid0(VALU_DEP_1) | instskip(NEXT) | instid1(VALU_DEP_1)
	v_mad_u32 v7, v7, s16, v15
	v_mad_u32 v15, v6, s17, v7
	s_delay_alu instid0(VALU_DEP_1) | instskip(NEXT) | instid1(VALU_DEP_1)
	v_mad_nc_u64_u32 v[6:7], v10, s18, v[14:15]
	v_mad_u32 v7, v11, s18, v7
	s_delay_alu instid0(VALU_DEP_1) | instskip(NEXT) | instid1(VALU_DEP_1)
	v_mad_u32 v7, v10, s19, v7
	v_mad_nc_u64_u32 v[6:7], v2, s36, v[6:7]
	s_delay_alu instid0(VALU_DEP_1) | instskip(NEXT) | instid1(VALU_DEP_1)
	v_mad_u32 v3, v3, s36, v7
	v_mad_u32 v7, v2, s37, v3
	s_delay_alu instid0(VALU_DEP_1) | instskip(NEXT) | instid1(VALU_DEP_1)
	v_mad_nc_u64_u32 v[2:3], v0, s38, v[6:7]
	v_mad_u32 v1, v1, s38, v3
	s_delay_alu instid0(VALU_DEP_1) | instskip(SKIP_4) | instid1(VALU_DEP_1)
	v_mad_u32 v3, v0, s39, v1
	v_mul_u64_e32 v[0:1], s[40:41], v[16:17]
	global_load_b32 v6, v[2:3], off
	v_sub_nc_u64_e32 v[0:1], v[8:9], v[0:1]
	s_wait_xcnt 0x0
	v_mad_nc_u64_u32 v[2:3], v0, s46, s[6:7]
	s_delay_alu instid0(VALU_DEP_1) | instskip(NEXT) | instid1(VALU_DEP_1)
	v_mad_u32 v1, v1, s46, v3
	v_mad_u32 v3, v0, s47, v1
	s_delay_alu instid0(VALU_DEP_1) | instskip(NEXT) | instid1(VALU_DEP_1)
	v_mad_nc_u64_u32 v[0:1], v16, s48, v[2:3]
	v_mad_u32 v1, v17, s48, v1
	s_delay_alu instid0(VALU_DEP_1) | instskip(NEXT) | instid1(VALU_DEP_1)
	v_mad_u32 v1, v16, s49, v1
	v_mad_nc_u64_u32 v[0:1], v4, s50, v[0:1]
	s_delay_alu instid0(VALU_DEP_1) | instskip(NEXT) | instid1(VALU_DEP_1)
	v_mad_u32 v1, v5, s50, v1
	v_mad_u32 v1, v4, s51, v1
	s_wait_kmcnt 0x0
	s_delay_alu instid0(VALU_DEP_1) | instskip(NEXT) | instid1(VALU_DEP_1)
	v_mad_nc_u64_u32 v[0:1], v12, s0, v[0:1]
	v_mad_u32 v1, v13, s0, v1
	s_delay_alu instid0(VALU_DEP_1)
	v_mad_u32 v1, v12, s1, v1
	s_wait_loadcnt 0x0
	global_store_b32 v[0:1], v6, off
.LBB12_26:
	s_endpgm
	.section	.rodata,"a",@progbits
	.p2align	6, 0x0
	.amdhsa_kernel _ZL10cpy_scalarIXadL_ZL12cpy_1_scalarIffEvPKcPcEEEvS2_S3_lllllllllllllll
		.amdhsa_group_segment_fixed_size 0
		.amdhsa_private_segment_fixed_size 0
		.amdhsa_kernarg_size 392
		.amdhsa_user_sgpr_count 2
		.amdhsa_user_sgpr_dispatch_ptr 0
		.amdhsa_user_sgpr_queue_ptr 0
		.amdhsa_user_sgpr_kernarg_segment_ptr 1
		.amdhsa_user_sgpr_dispatch_id 0
		.amdhsa_user_sgpr_kernarg_preload_length 0
		.amdhsa_user_sgpr_kernarg_preload_offset 0
		.amdhsa_user_sgpr_private_segment_size 0
		.amdhsa_wavefront_size32 1
		.amdhsa_uses_dynamic_stack 0
		.amdhsa_enable_private_segment 0
		.amdhsa_system_sgpr_workgroup_id_x 1
		.amdhsa_system_sgpr_workgroup_id_y 0
		.amdhsa_system_sgpr_workgroup_id_z 0
		.amdhsa_system_sgpr_workgroup_info 0
		.amdhsa_system_vgpr_workitem_id 0
		.amdhsa_next_free_vgpr 30
		.amdhsa_next_free_sgpr 52
		.amdhsa_named_barrier_count 0
		.amdhsa_reserve_vcc 1
		.amdhsa_float_round_mode_32 0
		.amdhsa_float_round_mode_16_64 0
		.amdhsa_float_denorm_mode_32 3
		.amdhsa_float_denorm_mode_16_64 3
		.amdhsa_fp16_overflow 0
		.amdhsa_memory_ordered 1
		.amdhsa_forward_progress 1
		.amdhsa_inst_pref_size 40
		.amdhsa_round_robin_scheduling 0
		.amdhsa_exception_fp_ieee_invalid_op 0
		.amdhsa_exception_fp_denorm_src 0
		.amdhsa_exception_fp_ieee_div_zero 0
		.amdhsa_exception_fp_ieee_overflow 0
		.amdhsa_exception_fp_ieee_underflow 0
		.amdhsa_exception_fp_ieee_inexact 0
		.amdhsa_exception_int_div_zero 0
	.end_amdhsa_kernel
	.section	.text._ZL10cpy_scalarIXadL_ZL12cpy_1_scalarIffEvPKcPcEEEvS2_S3_lllllllllllllll,"axG",@progbits,_ZL10cpy_scalarIXadL_ZL12cpy_1_scalarIffEvPKcPcEEEvS2_S3_lllllllllllllll,comdat
.Lfunc_end12:
	.size	_ZL10cpy_scalarIXadL_ZL12cpy_1_scalarIffEvPKcPcEEEvS2_S3_lllllllllllllll, .Lfunc_end12-_ZL10cpy_scalarIXadL_ZL12cpy_1_scalarIffEvPKcPcEEEvS2_S3_lllllllllllllll
                                        ; -- End function
	.set _ZL10cpy_scalarIXadL_ZL12cpy_1_scalarIffEvPKcPcEEEvS2_S3_lllllllllllllll.num_vgpr, 30
	.set _ZL10cpy_scalarIXadL_ZL12cpy_1_scalarIffEvPKcPcEEEvS2_S3_lllllllllllllll.num_agpr, 0
	.set _ZL10cpy_scalarIXadL_ZL12cpy_1_scalarIffEvPKcPcEEEvS2_S3_lllllllllllllll.numbered_sgpr, 52
	.set _ZL10cpy_scalarIXadL_ZL12cpy_1_scalarIffEvPKcPcEEEvS2_S3_lllllllllllllll.num_named_barrier, 0
	.set _ZL10cpy_scalarIXadL_ZL12cpy_1_scalarIffEvPKcPcEEEvS2_S3_lllllllllllllll.private_seg_size, 0
	.set _ZL10cpy_scalarIXadL_ZL12cpy_1_scalarIffEvPKcPcEEEvS2_S3_lllllllllllllll.uses_vcc, 1
	.set _ZL10cpy_scalarIXadL_ZL12cpy_1_scalarIffEvPKcPcEEEvS2_S3_lllllllllllllll.uses_flat_scratch, 0
	.set _ZL10cpy_scalarIXadL_ZL12cpy_1_scalarIffEvPKcPcEEEvS2_S3_lllllllllllllll.has_dyn_sized_stack, 0
	.set _ZL10cpy_scalarIXadL_ZL12cpy_1_scalarIffEvPKcPcEEEvS2_S3_lllllllllllllll.has_recursion, 0
	.set _ZL10cpy_scalarIXadL_ZL12cpy_1_scalarIffEvPKcPcEEEvS2_S3_lllllllllllllll.has_indirect_call, 0
	.section	.AMDGPU.csdata,"",@progbits
; Kernel info:
; codeLenInByte = 5004
; TotalNumSgprs: 54
; NumVgprs: 30
; ScratchSize: 0
; MemoryBound: 0
; FloatMode: 240
; IeeeMode: 1
; LDSByteSize: 0 bytes/workgroup (compile time only)
; SGPRBlocks: 0
; VGPRBlocks: 1
; NumSGPRsForWavesPerEU: 54
; NumVGPRsForWavesPerEU: 30
; NamedBarCnt: 0
; Occupancy: 16
; WaveLimiterHint : 0
; COMPUTE_PGM_RSRC2:SCRATCH_EN: 0
; COMPUTE_PGM_RSRC2:USER_SGPR: 2
; COMPUTE_PGM_RSRC2:TRAP_HANDLER: 0
; COMPUTE_PGM_RSRC2:TGID_X_EN: 1
; COMPUTE_PGM_RSRC2:TGID_Y_EN: 0
; COMPUTE_PGM_RSRC2:TGID_Z_EN: 0
; COMPUTE_PGM_RSRC2:TIDIG_COMP_CNT: 0
	.section	.text._ZL21cpy_scalar_contiguousIf14__hip_bfloat16EvPKcPcl,"axG",@progbits,_ZL21cpy_scalar_contiguousIf14__hip_bfloat16EvPKcPcl,comdat
	.globl	_ZL21cpy_scalar_contiguousIf14__hip_bfloat16EvPKcPcl ; -- Begin function _ZL21cpy_scalar_contiguousIf14__hip_bfloat16EvPKcPcl
	.p2align	8
	.type	_ZL21cpy_scalar_contiguousIf14__hip_bfloat16EvPKcPcl,@function
_ZL21cpy_scalar_contiguousIf14__hip_bfloat16EvPKcPcl: ; @_ZL21cpy_scalar_contiguousIf14__hip_bfloat16EvPKcPcl
; %bb.0:
	s_clause 0x1
	s_load_b32 s4, s[0:1], 0x24
	s_load_b64 s[2:3], s[0:1], 0x10
	s_bfe_u32 s5, ttmp6, 0x4000c
	s_and_b32 s6, ttmp6, 15
	s_add_co_i32 s5, s5, 1
	s_getreg_b32 s7, hwreg(HW_REG_IB_STS2, 6, 4)
	s_mul_i32 s5, ttmp9, s5
	v_mov_b32_e32 v1, 0
	s_add_co_i32 s6, s6, s5
	s_wait_kmcnt 0x0
	s_and_b32 s4, s4, 0xffff
	s_cmp_eq_u32 s7, 0
	s_cselect_b32 s5, ttmp9, s6
	s_delay_alu instid0(SALU_CYCLE_1) | instskip(NEXT) | instid1(VALU_DEP_1)
	v_mad_nc_u64_u32 v[0:1], s4, s5, v[0:1]
	v_cmp_gt_i64_e32 vcc_lo, s[2:3], v[0:1]
	s_and_saveexec_b32 s2, vcc_lo
	s_cbranch_execz .LBB13_2
; %bb.1:
	s_load_b128 s[0:3], s[0:1], 0x0
	s_wait_kmcnt 0x0
	v_lshl_add_u64 v[2:3], v[0:1], 2, s[0:1]
	v_lshl_add_u64 v[0:1], v[0:1], 1, s[2:3]
	global_load_b32 v2, v[2:3], off
	s_wait_loadcnt 0x0
	v_cvt_pk_bf16_f32 v2, v2, s0
	global_store_b16 v[0:1], v2, off
.LBB13_2:
	s_endpgm
	.section	.rodata,"a",@progbits
	.p2align	6, 0x0
	.amdhsa_kernel _ZL21cpy_scalar_contiguousIf14__hip_bfloat16EvPKcPcl
		.amdhsa_group_segment_fixed_size 0
		.amdhsa_private_segment_fixed_size 0
		.amdhsa_kernarg_size 280
		.amdhsa_user_sgpr_count 2
		.amdhsa_user_sgpr_dispatch_ptr 0
		.amdhsa_user_sgpr_queue_ptr 0
		.amdhsa_user_sgpr_kernarg_segment_ptr 1
		.amdhsa_user_sgpr_dispatch_id 0
		.amdhsa_user_sgpr_kernarg_preload_length 0
		.amdhsa_user_sgpr_kernarg_preload_offset 0
		.amdhsa_user_sgpr_private_segment_size 0
		.amdhsa_wavefront_size32 1
		.amdhsa_uses_dynamic_stack 0
		.amdhsa_enable_private_segment 0
		.amdhsa_system_sgpr_workgroup_id_x 1
		.amdhsa_system_sgpr_workgroup_id_y 0
		.amdhsa_system_sgpr_workgroup_id_z 0
		.amdhsa_system_sgpr_workgroup_info 0
		.amdhsa_system_vgpr_workitem_id 0
		.amdhsa_next_free_vgpr 4
		.amdhsa_next_free_sgpr 8
		.amdhsa_named_barrier_count 0
		.amdhsa_reserve_vcc 1
		.amdhsa_float_round_mode_32 0
		.amdhsa_float_round_mode_16_64 0
		.amdhsa_float_denorm_mode_32 3
		.amdhsa_float_denorm_mode_16_64 3
		.amdhsa_fp16_overflow 0
		.amdhsa_memory_ordered 1
		.amdhsa_forward_progress 1
		.amdhsa_inst_pref_size 2
		.amdhsa_round_robin_scheduling 0
		.amdhsa_exception_fp_ieee_invalid_op 0
		.amdhsa_exception_fp_denorm_src 0
		.amdhsa_exception_fp_ieee_div_zero 0
		.amdhsa_exception_fp_ieee_overflow 0
		.amdhsa_exception_fp_ieee_underflow 0
		.amdhsa_exception_fp_ieee_inexact 0
		.amdhsa_exception_int_div_zero 0
	.end_amdhsa_kernel
	.section	.text._ZL21cpy_scalar_contiguousIf14__hip_bfloat16EvPKcPcl,"axG",@progbits,_ZL21cpy_scalar_contiguousIf14__hip_bfloat16EvPKcPcl,comdat
.Lfunc_end13:
	.size	_ZL21cpy_scalar_contiguousIf14__hip_bfloat16EvPKcPcl, .Lfunc_end13-_ZL21cpy_scalar_contiguousIf14__hip_bfloat16EvPKcPcl
                                        ; -- End function
	.set _ZL21cpy_scalar_contiguousIf14__hip_bfloat16EvPKcPcl.num_vgpr, 4
	.set _ZL21cpy_scalar_contiguousIf14__hip_bfloat16EvPKcPcl.num_agpr, 0
	.set _ZL21cpy_scalar_contiguousIf14__hip_bfloat16EvPKcPcl.numbered_sgpr, 8
	.set _ZL21cpy_scalar_contiguousIf14__hip_bfloat16EvPKcPcl.num_named_barrier, 0
	.set _ZL21cpy_scalar_contiguousIf14__hip_bfloat16EvPKcPcl.private_seg_size, 0
	.set _ZL21cpy_scalar_contiguousIf14__hip_bfloat16EvPKcPcl.uses_vcc, 1
	.set _ZL21cpy_scalar_contiguousIf14__hip_bfloat16EvPKcPcl.uses_flat_scratch, 0
	.set _ZL21cpy_scalar_contiguousIf14__hip_bfloat16EvPKcPcl.has_dyn_sized_stack, 0
	.set _ZL21cpy_scalar_contiguousIf14__hip_bfloat16EvPKcPcl.has_recursion, 0
	.set _ZL21cpy_scalar_contiguousIf14__hip_bfloat16EvPKcPcl.has_indirect_call, 0
	.section	.AMDGPU.csdata,"",@progbits
; Kernel info:
; codeLenInByte = 164
; TotalNumSgprs: 10
; NumVgprs: 4
; ScratchSize: 0
; MemoryBound: 0
; FloatMode: 240
; IeeeMode: 1
; LDSByteSize: 0 bytes/workgroup (compile time only)
; SGPRBlocks: 0
; VGPRBlocks: 0
; NumSGPRsForWavesPerEU: 10
; NumVGPRsForWavesPerEU: 4
; NamedBarCnt: 0
; Occupancy: 16
; WaveLimiterHint : 0
; COMPUTE_PGM_RSRC2:SCRATCH_EN: 0
; COMPUTE_PGM_RSRC2:USER_SGPR: 2
; COMPUTE_PGM_RSRC2:TRAP_HANDLER: 0
; COMPUTE_PGM_RSRC2:TGID_X_EN: 1
; COMPUTE_PGM_RSRC2:TGID_Y_EN: 0
; COMPUTE_PGM_RSRC2:TGID_Z_EN: 0
; COMPUTE_PGM_RSRC2:TIDIG_COMP_CNT: 0
	.section	.text._ZL20cpy_scalar_transposeI14__hip_bfloat16EvPKcPclllllllllllllll,"axG",@progbits,_ZL20cpy_scalar_transposeI14__hip_bfloat16EvPKcPclllllllllllllll,comdat
	.globl	_ZL20cpy_scalar_transposeI14__hip_bfloat16EvPKcPclllllllllllllll ; -- Begin function _ZL20cpy_scalar_transposeI14__hip_bfloat16EvPKcPclllllllllllllll
	.p2align	8
	.type	_ZL20cpy_scalar_transposeI14__hip_bfloat16EvPKcPclllllllllllllll,@function
_ZL20cpy_scalar_transposeI14__hip_bfloat16EvPKcPclllllllllllllll: ; @_ZL20cpy_scalar_transposeI14__hip_bfloat16EvPKcPclllllllllllllll
; %bb.0:
	s_clause 0x1
	s_load_b256 s[4:11], s[0:1], 0x0
	s_load_b64 s[12:13], s[0:1], 0x20
	s_wait_kmcnt 0x0
	s_mul_u64 s[14:15], s[12:13], s[10:11]
	s_delay_alu instid0(SALU_CYCLE_1) | instskip(NEXT) | instid1(SALU_CYCLE_1)
	s_or_b64 s[0:1], s[8:9], s[14:15]
	s_and_b64 s[0:1], s[0:1], 0xffffffff00000000
	s_delay_alu instid0(SALU_CYCLE_1)
	s_cmp_lg_u64 s[0:1], 0
	s_cbranch_scc0 .LBB14_127
; %bb.1:
	s_ashr_i32 s0, s15, 31
	s_delay_alu instid0(SALU_CYCLE_1) | instskip(NEXT) | instid1(SALU_CYCLE_1)
	s_mov_b32 s1, s0
	s_add_nc_u64 s[2:3], s[14:15], s[0:1]
	s_delay_alu instid0(SALU_CYCLE_1) | instskip(NEXT) | instid1(SALU_CYCLE_1)
	s_xor_b64 s[16:17], s[2:3], s[0:1]
	s_cvt_f32_u32 s2, s16
	s_cvt_f32_u32 s3, s17
	s_sub_nc_u64 s[20:21], 0, s[16:17]
	s_delay_alu instid0(SALU_CYCLE_2) | instskip(NEXT) | instid1(SALU_CYCLE_3)
	s_fmamk_f32 s2, s3, 0x4f800000, s2
	v_s_rcp_f32 s2, s2
	s_delay_alu instid0(TRANS32_DEP_1) | instskip(NEXT) | instid1(SALU_CYCLE_3)
	s_mul_f32 s2, s2, 0x5f7ffffc
	s_mul_f32 s3, s2, 0x2f800000
	s_delay_alu instid0(SALU_CYCLE_3) | instskip(NEXT) | instid1(SALU_CYCLE_3)
	s_trunc_f32 s3, s3
	s_fmamk_f32 s2, s3, 0xcf800000, s2
	s_cvt_u32_f32 s19, s3
	s_mov_b32 s3, 0
	s_delay_alu instid0(SALU_CYCLE_1) | instskip(NEXT) | instid1(SALU_CYCLE_3)
	s_cvt_u32_f32 s18, s2
	s_mul_u64 s[22:23], s[20:21], s[18:19]
	s_delay_alu instid0(SALU_CYCLE_1)
	s_mul_hi_u32 s25, s18, s23
	s_mul_i32 s24, s18, s23
	s_mul_hi_u32 s2, s18, s22
	s_mul_i32 s27, s19, s22
	s_add_nc_u64 s[24:25], s[2:3], s[24:25]
	s_mul_hi_u32 s26, s19, s22
	s_mul_hi_u32 s28, s19, s23
	s_add_co_u32 s2, s24, s27
	s_add_co_ci_u32 s2, s25, s26
	s_mul_i32 s22, s19, s23
	s_add_co_ci_u32 s23, s28, 0
	s_delay_alu instid0(SALU_CYCLE_1) | instskip(NEXT) | instid1(SALU_CYCLE_1)
	s_add_nc_u64 s[22:23], s[2:3], s[22:23]
	s_add_co_u32 s18, s18, s22
	s_cselect_b32 s2, -1, 0
	s_delay_alu instid0(SALU_CYCLE_1) | instskip(SKIP_1) | instid1(SALU_CYCLE_1)
	s_cmp_lg_u32 s2, 0
	s_add_co_ci_u32 s19, s19, s23
	s_mul_u64 s[20:21], s[20:21], s[18:19]
	s_delay_alu instid0(SALU_CYCLE_1)
	s_mul_hi_u32 s23, s18, s21
	s_mul_i32 s22, s18, s21
	s_mul_hi_u32 s2, s18, s20
	s_mul_i32 s25, s19, s20
	s_add_nc_u64 s[22:23], s[2:3], s[22:23]
	s_mul_hi_u32 s24, s19, s20
	s_mul_hi_u32 s26, s19, s21
	s_add_co_u32 s2, s22, s25
	s_add_co_ci_u32 s2, s23, s24
	s_mul_i32 s20, s19, s21
	s_add_co_ci_u32 s21, s26, 0
	s_delay_alu instid0(SALU_CYCLE_1) | instskip(NEXT) | instid1(SALU_CYCLE_1)
	s_add_nc_u64 s[20:21], s[2:3], s[20:21]
	s_add_co_u32 s24, s18, s20
	s_cselect_b32 s2, -1, 0
	s_delay_alu instid0(SALU_CYCLE_1) | instskip(SKIP_2) | instid1(SALU_CYCLE_1)
	s_cmp_lg_u32 s2, 0
	s_add_co_ci_u32 s25, s19, s21
	s_ashr_i32 s18, s9, 31
	s_mov_b32 s19, s18
	s_delay_alu instid0(SALU_CYCLE_1) | instskip(NEXT) | instid1(SALU_CYCLE_1)
	s_add_nc_u64 s[20:21], s[8:9], s[18:19]
	s_xor_b64 s[20:21], s[20:21], s[18:19]
	s_delay_alu instid0(SALU_CYCLE_1)
	s_mul_hi_u32 s23, s20, s25
	s_mul_i32 s22, s20, s25
	s_mul_hi_u32 s2, s20, s24
	s_mul_i32 s27, s21, s24
	s_add_nc_u64 s[22:23], s[2:3], s[22:23]
	s_mul_hi_u32 s26, s21, s24
	s_mul_hi_u32 s9, s21, s25
	s_add_co_u32 s2, s22, s27
	s_add_co_ci_u32 s2, s23, s26
	s_mul_i32 s24, s21, s25
	s_add_co_ci_u32 s25, s9, 0
	s_delay_alu instid0(SALU_CYCLE_1) | instskip(NEXT) | instid1(SALU_CYCLE_1)
	s_add_nc_u64 s[22:23], s[2:3], s[24:25]
	s_and_b64 s[24:25], s[22:23], 0xffffffff00000000
	s_delay_alu instid0(SALU_CYCLE_1) | instskip(NEXT) | instid1(SALU_CYCLE_1)
	s_or_b32 s24, s24, s22
	s_mul_u64 s[22:23], s[16:17], s[24:25]
	s_delay_alu instid0(SALU_CYCLE_1)
	s_sub_co_u32 s2, s20, s22
	s_cselect_b32 s9, -1, 0
	s_sub_co_i32 s20, s21, s23
	s_cmp_lg_u32 s9, 0
	s_sub_co_ci_u32 s20, s20, s17
	s_sub_co_u32 s22, s2, s16
	s_cselect_b32 s26, -1, 0
	s_delay_alu instid0(SALU_CYCLE_1) | instskip(SKIP_2) | instid1(SALU_CYCLE_1)
	s_cmp_lg_u32 s26, 0
	s_add_nc_u64 s[26:27], s[24:25], 1
	s_sub_co_ci_u32 s20, s20, 0
	s_cmp_ge_u32 s20, s17
	s_cselect_b32 s28, -1, 0
	s_cmp_ge_u32 s22, s16
	s_cselect_b32 s22, -1, 0
	s_cmp_eq_u32 s20, s17
	s_cselect_b32 s20, s22, s28
	s_add_nc_u64 s[28:29], s[24:25], 2
	s_cmp_lg_u32 s20, 0
	s_cselect_b32 s20, s28, s26
	s_cselect_b32 s22, s29, s27
	s_cmp_lg_u32 s9, 0
	s_sub_co_ci_u32 s9, s21, s23
	s_delay_alu instid0(SALU_CYCLE_1)
	s_cmp_ge_u32 s9, s17
	s_cselect_b32 s21, -1, 0
	s_cmp_ge_u32 s2, s16
	s_cselect_b32 s2, -1, 0
	s_cmp_eq_u32 s9, s17
	s_cselect_b32 s2, s2, s21
	s_delay_alu instid0(SALU_CYCLE_1) | instskip(SKIP_3) | instid1(SALU_CYCLE_1)
	s_cmp_lg_u32 s2, 0
	s_cselect_b32 s17, s22, s25
	s_cselect_b32 s16, s20, s24
	s_xor_b64 s[0:1], s[18:19], s[0:1]
	s_xor_b64 s[16:17], s[16:17], s[0:1]
	s_delay_alu instid0(SALU_CYCLE_1)
	s_sub_nc_u64 s[16:17], s[16:17], s[0:1]
	s_cbranch_execnz .LBB14_3
.LBB14_2:
	v_cvt_f32_u32_e32 v1, s14
	s_sub_co_i32 s1, 0, s14
	s_mov_b32 s17, 0
	s_delay_alu instid0(VALU_DEP_1) | instskip(SKIP_1) | instid1(TRANS32_DEP_1)
	v_rcp_iflag_f32_e32 v1, v1
	v_nop
	v_mul_f32_e32 v1, 0x4f7ffffe, v1
	s_delay_alu instid0(VALU_DEP_1) | instskip(NEXT) | instid1(VALU_DEP_1)
	v_cvt_u32_f32_e32 v1, v1
	v_readfirstlane_b32 s0, v1
	s_mul_i32 s1, s1, s0
	s_delay_alu instid0(SALU_CYCLE_1) | instskip(NEXT) | instid1(SALU_CYCLE_1)
	s_mul_hi_u32 s1, s0, s1
	s_add_co_i32 s0, s0, s1
	s_delay_alu instid0(SALU_CYCLE_1) | instskip(NEXT) | instid1(SALU_CYCLE_1)
	s_mul_hi_u32 s0, s8, s0
	s_mul_i32 s1, s0, s14
	s_add_co_i32 s2, s0, 1
	s_sub_co_i32 s1, s8, s1
	s_delay_alu instid0(SALU_CYCLE_1)
	s_sub_co_i32 s3, s1, s14
	s_cmp_ge_u32 s1, s14
	s_cselect_b32 s0, s2, s0
	s_cselect_b32 s1, s3, s1
	s_add_co_i32 s2, s0, 1
	s_cmp_ge_u32 s1, s14
	s_cselect_b32 s16, s2, s0
.LBB14_3:
	s_bfe_u32 s0, ttmp6, 0x40014
	s_lshr_b32 s1, ttmp7, 16
	s_add_co_i32 s0, s0, 1
	s_bfe_u32 s3, ttmp6, 0x40008
	s_mul_i32 s2, s1, s0
	s_getreg_b32 s0, hwreg(HW_REG_IB_STS2, 6, 4)
	s_add_co_i32 s3, s3, s2
	s_cmp_eq_u32 s0, 0
	s_mov_b32 s9, 0
	s_cselect_b32 s1, s1, s3
	s_delay_alu instid0(SALU_CYCLE_1) | instskip(NEXT) | instid1(SALU_CYCLE_1)
	s_lshl_b32 s8, s1, 3
	v_cmp_le_i64_e64 s1, s[16:17], s[8:9]
	s_and_b32 vcc_lo, exec_lo, s1
	s_cbranch_vccnz .LBB14_126
; %bb.4:
	s_bfe_u32 s1, ttmp6, 0x4000c
	s_bfe_u32 s3, ttmp6, 0x40010
	s_add_co_i32 s1, s1, 1
	s_and_b32 s18, ttmp7, 0xffff
	s_add_co_i32 s3, s3, 1
	s_and_b32 s2, ttmp6, 15
	s_mul_i32 s1, ttmp9, s1
	s_mul_i32 s3, s18, s3
	s_bfe_u32 s19, ttmp6, 0x40004
	s_add_co_i32 s2, s2, s1
	s_add_co_i32 s19, s19, s3
	s_cmp_eq_u32 s0, 0
	v_and_b32_e32 v9, 0x3ff, v0
	s_cselect_b32 s0, ttmp9, s2
	s_cselect_b32 s2, s18, s19
	s_lshl_b32 s1, s0, 5
	v_bfe_u32 v8, v0, 10, 10
	s_lshl_b32 s2, s2, 5
	v_dual_add_nc_u32 v2, s1, v9 :: v_dual_lshlrev_b32 v20, 2, v9
	s_delay_alu instid0(VALU_DEP_2) | instskip(SKIP_1) | instid1(VALU_DEP_3)
	v_add_nc_u32_e32 v0, s2, v8
	v_mul_u32_u24_e32 v19, 0x84, v8
	v_ashrrev_i32_e32 v3, 31, v2
	s_delay_alu instid0(VALU_DEP_1)
	v_cmp_gt_i64_e64 s0, s[12:13], v[2:3]
	v_lshl_add_u64 v[2:3], v[2:3], 1, s[4:5]
	s_mul_u64 s[4:5], s[14:15], s[8:9]
	s_and_saveexec_b32 s3, s0
	s_cbranch_execz .LBB14_13
; %bb.5:
	v_ashrrev_i32_e32 v1, 31, v0
	v_lshl_add_u64 v[4:5], s[4:5], 1, v[2:3]
	s_mov_b32 s9, exec_lo
	s_delay_alu instid0(VALU_DEP_2)
	v_cmpx_gt_i64_e64 s[10:11], v[0:1]
	s_cbranch_execz .LBB14_7
; %bb.6:
	v_mul_u64_e32 v[6:7], s[12:13], v[0:1]
	s_delay_alu instid0(VALU_DEP_1)
	v_lshl_add_u64 v[6:7], v[6:7], 1, v[4:5]
	global_load_u16 v1, v[6:7], off
	s_wait_xcnt 0x0
	v_add_nc_u32_e32 v6, v19, v20
	s_wait_loadcnt 0x0
	ds_store_b16 v6, v1
.LBB14_7:
	s_or_b32 exec_lo, exec_lo, s9
	v_add_nc_u32_e32 v6, 8, v0
	s_mov_b32 s9, exec_lo
	s_delay_alu instid0(VALU_DEP_1) | instskip(NEXT) | instid1(VALU_DEP_1)
	v_ashrrev_i32_e32 v7, 31, v6
	v_cmpx_gt_i64_e64 s[10:11], v[6:7]
	s_cbranch_execz .LBB14_9
; %bb.8:
	v_mul_u64_e32 v[6:7], s[12:13], v[6:7]
	s_delay_alu instid0(VALU_DEP_1)
	v_lshl_add_u64 v[6:7], v[6:7], 1, v[4:5]
	global_load_u16 v1, v[6:7], off
	s_wait_xcnt 0x0
	v_add_nc_u32_e32 v6, v19, v20
	s_wait_loadcnt 0x0
	ds_store_b16 v6, v1 offset:1056
.LBB14_9:
	s_or_b32 exec_lo, exec_lo, s9
	v_add_nc_u32_e32 v6, 16, v0
	s_mov_b32 s9, exec_lo
	s_delay_alu instid0(VALU_DEP_1) | instskip(NEXT) | instid1(VALU_DEP_1)
	v_ashrrev_i32_e32 v7, 31, v6
	v_cmpx_gt_i64_e64 s[10:11], v[6:7]
	s_cbranch_execz .LBB14_11
; %bb.10:
	v_mul_u64_e32 v[6:7], s[12:13], v[6:7]
	s_delay_alu instid0(VALU_DEP_1)
	v_lshl_add_u64 v[6:7], v[6:7], 1, v[4:5]
	global_load_u16 v1, v[6:7], off
	s_wait_xcnt 0x0
	v_add_nc_u32_e32 v6, v19, v20
	s_wait_loadcnt 0x0
	ds_store_b16 v6, v1 offset:2112
.LBB14_11:
	s_or_b32 exec_lo, exec_lo, s9
	v_add_nc_u32_e32 v6, 24, v0
	s_delay_alu instid0(VALU_DEP_1) | instskip(NEXT) | instid1(VALU_DEP_1)
	v_ashrrev_i32_e32 v7, 31, v6
	v_cmp_gt_i64_e32 vcc_lo, s[10:11], v[6:7]
	s_and_b32 exec_lo, exec_lo, vcc_lo
	s_cbranch_execz .LBB14_13
; %bb.12:
	v_mul_u64_e32 v[6:7], s[12:13], v[6:7]
	s_delay_alu instid0(VALU_DEP_1)
	v_lshl_add_u64 v[4:5], v[6:7], 1, v[4:5]
	global_load_u16 v1, v[4:5], off
	s_wait_xcnt 0x0
	v_add_nc_u32_e32 v4, v19, v20
	s_wait_loadcnt 0x0
	ds_store_b16 v4, v1 offset:3168
.LBB14_13:
	s_or_b32 exec_lo, exec_lo, s3
	v_dual_mov_b32 v7, 0 :: v_dual_add_nc_u32 v6, s2, v9
	v_add_nc_u32_e32 v4, s1, v8
	v_mul_u32_u24_e32 v1, 0x84, v9
	s_wait_dscnt 0x0
	s_barrier_signal -1
	v_cmp_le_i64_e32 vcc_lo, s[10:11], v[6:7]
	v_cmp_gt_i64_e64 s1, s[10:11], v[6:7]
	v_dual_lshlrev_b32 v6, 1, v6 :: v_dual_ashrrev_i32 v5, 31, v4
	v_lshl_add_u32 v18, v8, 2, v1
	s_barrier_wait -1
	s_delay_alu instid0(VALU_DEP_2) | instskip(NEXT) | instid1(VALU_DEP_3)
	v_add_nc_u64_e32 v[6:7], s[6:7], v[6:7]
	v_cmp_gt_i64_e64 s2, s[12:13], v[4:5]
	s_delay_alu instid0(VALU_DEP_2) | instskip(SKIP_1) | instid1(SALU_CYCLE_1)
	v_lshl_add_u64 v[14:15], s[4:5], 1, v[6:7]
	s_and_b32 s4, s2, s1
	s_and_saveexec_b32 s1, s4
	s_cbranch_execz .LBB14_15
; %bb.14:
	v_mul_u64_e32 v[8:9], s[10:11], v[4:5]
	ds_load_u16 v1, v18
	v_lshl_add_u64 v[8:9], v[8:9], 1, v[14:15]
	s_wait_dscnt 0x0
	global_store_b16 v[8:9], v1, off
.LBB14_15:
	s_wait_xcnt 0x0
	s_or_b32 exec_lo, exec_lo, s1
	v_add_nc_u32_e32 v8, 8, v4
	s_xor_b32 s2, vcc_lo, -1
	s_delay_alu instid0(VALU_DEP_1) | instskip(NEXT) | instid1(VALU_DEP_1)
	v_ashrrev_i32_e32 v9, 31, v8
	v_cmp_gt_i64_e64 s1, s[12:13], v[8:9]
	s_and_b32 s1, s1, s2
	s_delay_alu instid0(SALU_CYCLE_1)
	s_and_saveexec_b32 s3, s1
	s_cbranch_execz .LBB14_17
; %bb.16:
	v_mul_u64_e32 v[10:11], s[10:11], v[8:9]
	ds_load_u16 v1, v18 offset:32
	v_lshl_add_u64 v[10:11], v[10:11], 1, v[14:15]
	s_wait_dscnt 0x0
	global_store_b16 v[10:11], v1, off
.LBB14_17:
	s_wait_xcnt 0x0
	s_or_b32 exec_lo, exec_lo, s3
	v_add_nc_u32_e32 v10, 16, v4
	s_delay_alu instid0(VALU_DEP_1) | instskip(NEXT) | instid1(VALU_DEP_1)
	v_ashrrev_i32_e32 v11, 31, v10
	v_cmp_gt_i64_e32 vcc_lo, s[12:13], v[10:11]
	s_and_b32 s5, vcc_lo, s2
	s_delay_alu instid0(SALU_CYCLE_1)
	s_and_saveexec_b32 s3, s5
	s_cbranch_execz .LBB14_19
; %bb.18:
	v_mul_u64_e32 v[12:13], s[10:11], v[10:11]
	ds_load_u16 v1, v18 offset:64
	v_lshl_add_u64 v[12:13], v[12:13], 1, v[14:15]
	s_wait_dscnt 0x0
	global_store_b16 v[12:13], v1, off
.LBB14_19:
	s_wait_xcnt 0x0
	s_or_b32 exec_lo, exec_lo, s3
	v_add_nc_u32_e32 v12, 24, v4
	s_delay_alu instid0(VALU_DEP_1) | instskip(NEXT) | instid1(VALU_DEP_1)
	v_ashrrev_i32_e32 v13, 31, v12
	v_cmp_gt_i64_e32 vcc_lo, s[12:13], v[12:13]
	s_and_b32 s6, vcc_lo, s2
	s_delay_alu instid0(SALU_CYCLE_1)
	s_and_saveexec_b32 s2, s6
	s_cbranch_execz .LBB14_21
; %bb.20:
	v_mul_u64_e32 v[16:17], s[10:11], v[12:13]
	ds_load_u16 v1, v18 offset:96
	v_lshl_add_u64 v[14:15], v[16:17], 1, v[14:15]
	s_wait_dscnt 0x0
	global_store_b16 v[14:15], v1, off
.LBB14_21:
	s_wait_xcnt 0x0
	s_or_b32 exec_lo, exec_lo, s2
	s_or_b32 s2, s8, 1
	s_mov_b32 s3, 0
	s_delay_alu instid0(SALU_CYCLE_1)
	v_cmp_le_u64_e64 s7, s[16:17], s[2:3]
	s_and_b32 vcc_lo, exec_lo, s7
	s_cbranch_vccnz .LBB14_126
; %bb.22:
	s_mul_u64 s[2:3], s[14:15], s[2:3]
	s_and_saveexec_b32 s7, s0
	s_cbranch_execz .LBB14_31
; %bb.23:
	v_ashrrev_i32_e32 v1, 31, v0
	v_lshl_add_u64 v[14:15], s[2:3], 1, v[2:3]
	s_mov_b32 s9, exec_lo
	s_delay_alu instid0(VALU_DEP_2)
	v_cmpx_gt_i64_e64 s[10:11], v[0:1]
	s_cbranch_execz .LBB14_25
; %bb.24:
	v_mul_u64_e32 v[16:17], s[12:13], v[0:1]
	s_delay_alu instid0(VALU_DEP_1)
	v_lshl_add_u64 v[16:17], v[16:17], 1, v[14:15]
	global_load_u16 v1, v[16:17], off
	s_wait_xcnt 0x0
	v_add_nc_u32_e32 v16, v19, v20
	s_wait_loadcnt 0x0
	ds_store_b16 v16, v1 offset:4224
.LBB14_25:
	s_or_b32 exec_lo, exec_lo, s9
	v_add_nc_u32_e32 v16, 8, v0
	s_mov_b32 s9, exec_lo
	s_delay_alu instid0(VALU_DEP_1) | instskip(NEXT) | instid1(VALU_DEP_1)
	v_ashrrev_i32_e32 v17, 31, v16
	v_cmpx_gt_i64_e64 s[10:11], v[16:17]
	s_cbranch_execz .LBB14_27
; %bb.26:
	v_mul_u64_e32 v[16:17], s[12:13], v[16:17]
	s_delay_alu instid0(VALU_DEP_1)
	v_lshl_add_u64 v[16:17], v[16:17], 1, v[14:15]
	global_load_u16 v1, v[16:17], off
	s_wait_xcnt 0x0
	v_add_nc_u32_e32 v16, v19, v20
	s_wait_loadcnt 0x0
	ds_store_b16 v16, v1 offset:5280
.LBB14_27:
	s_or_b32 exec_lo, exec_lo, s9
	v_add_nc_u32_e32 v16, 16, v0
	s_mov_b32 s9, exec_lo
	s_delay_alu instid0(VALU_DEP_1) | instskip(NEXT) | instid1(VALU_DEP_1)
	v_ashrrev_i32_e32 v17, 31, v16
	v_cmpx_gt_i64_e64 s[10:11], v[16:17]
	s_cbranch_execz .LBB14_29
; %bb.28:
	v_mul_u64_e32 v[16:17], s[12:13], v[16:17]
	s_delay_alu instid0(VALU_DEP_1)
	v_lshl_add_u64 v[16:17], v[16:17], 1, v[14:15]
	global_load_u16 v1, v[16:17], off
	s_wait_xcnt 0x0
	v_add_nc_u32_e32 v16, v19, v20
	s_wait_loadcnt 0x0
	ds_store_b16 v16, v1 offset:6336
.LBB14_29:
	s_or_b32 exec_lo, exec_lo, s9
	v_add_nc_u32_e32 v16, 24, v0
	s_delay_alu instid0(VALU_DEP_1) | instskip(NEXT) | instid1(VALU_DEP_1)
	v_ashrrev_i32_e32 v17, 31, v16
	v_cmp_gt_i64_e32 vcc_lo, s[10:11], v[16:17]
	s_and_b32 exec_lo, exec_lo, vcc_lo
	s_cbranch_execz .LBB14_31
; %bb.30:
	v_mul_u64_e32 v[16:17], s[12:13], v[16:17]
	s_delay_alu instid0(VALU_DEP_1)
	v_lshl_add_u64 v[14:15], v[16:17], 1, v[14:15]
	global_load_u16 v1, v[14:15], off
	s_wait_xcnt 0x0
	v_add_nc_u32_e32 v14, v19, v20
	s_wait_loadcnt 0x0
	ds_store_b16 v14, v1 offset:7392
.LBB14_31:
	s_or_b32 exec_lo, exec_lo, s7
	v_lshl_add_u64 v[14:15], s[2:3], 1, v[6:7]
	s_wait_storecnt_dscnt 0x0
	s_barrier_signal -1
	s_barrier_wait -1
	s_and_saveexec_b32 s2, s4
	s_cbranch_execnz .LBB14_128
; %bb.32:
	s_or_b32 exec_lo, exec_lo, s2
	s_and_saveexec_b32 s2, s1
	s_cbranch_execnz .LBB14_129
.LBB14_33:
	s_or_b32 exec_lo, exec_lo, s2
	s_and_saveexec_b32 s2, s5
	s_cbranch_execnz .LBB14_130
.LBB14_34:
	s_or_b32 exec_lo, exec_lo, s2
	s_and_saveexec_b32 s2, s6
	s_cbranch_execz .LBB14_36
.LBB14_35:
	v_mul_u64_e32 v[16:17], s[10:11], v[12:13]
	ds_load_u16 v1, v18 offset:4320
	v_lshl_add_u64 v[14:15], v[16:17], 1, v[14:15]
	s_wait_dscnt 0x0
	global_store_b16 v[14:15], v1, off
.LBB14_36:
	s_wait_xcnt 0x0
	s_or_b32 exec_lo, exec_lo, s2
	s_or_b32 s2, s8, 2
	s_mov_b32 s3, 0
	s_delay_alu instid0(SALU_CYCLE_1)
	v_cmp_le_u64_e64 s7, s[16:17], s[2:3]
	s_and_b32 vcc_lo, exec_lo, s7
	s_cbranch_vccnz .LBB14_126
; %bb.37:
	s_mul_u64 s[2:3], s[14:15], s[2:3]
	s_and_saveexec_b32 s7, s0
	s_cbranch_execz .LBB14_46
; %bb.38:
	v_ashrrev_i32_e32 v1, 31, v0
	v_lshl_add_u64 v[14:15], s[2:3], 1, v[2:3]
	s_mov_b32 s9, exec_lo
	s_delay_alu instid0(VALU_DEP_2)
	v_cmpx_gt_i64_e64 s[10:11], v[0:1]
	s_cbranch_execz .LBB14_40
; %bb.39:
	v_mul_u64_e32 v[16:17], s[12:13], v[0:1]
	s_delay_alu instid0(VALU_DEP_1)
	v_lshl_add_u64 v[16:17], v[16:17], 1, v[14:15]
	global_load_u16 v1, v[16:17], off
	s_wait_xcnt 0x0
	v_add_nc_u32_e32 v16, v19, v20
	s_wait_loadcnt 0x0
	ds_store_b16 v16, v1
.LBB14_40:
	s_or_b32 exec_lo, exec_lo, s9
	v_add_nc_u32_e32 v16, 8, v0
	s_mov_b32 s9, exec_lo
	s_delay_alu instid0(VALU_DEP_1) | instskip(NEXT) | instid1(VALU_DEP_1)
	v_ashrrev_i32_e32 v17, 31, v16
	v_cmpx_gt_i64_e64 s[10:11], v[16:17]
	s_cbranch_execz .LBB14_42
; %bb.41:
	v_mul_u64_e32 v[16:17], s[12:13], v[16:17]
	s_delay_alu instid0(VALU_DEP_1)
	v_lshl_add_u64 v[16:17], v[16:17], 1, v[14:15]
	global_load_u16 v1, v[16:17], off
	s_wait_xcnt 0x0
	v_add_nc_u32_e32 v16, v19, v20
	s_wait_loadcnt 0x0
	ds_store_b16 v16, v1 offset:1056
.LBB14_42:
	s_or_b32 exec_lo, exec_lo, s9
	v_add_nc_u32_e32 v16, 16, v0
	s_mov_b32 s9, exec_lo
	s_delay_alu instid0(VALU_DEP_1) | instskip(NEXT) | instid1(VALU_DEP_1)
	v_ashrrev_i32_e32 v17, 31, v16
	v_cmpx_gt_i64_e64 s[10:11], v[16:17]
	s_cbranch_execz .LBB14_44
; %bb.43:
	v_mul_u64_e32 v[16:17], s[12:13], v[16:17]
	s_delay_alu instid0(VALU_DEP_1)
	v_lshl_add_u64 v[16:17], v[16:17], 1, v[14:15]
	global_load_u16 v1, v[16:17], off
	s_wait_xcnt 0x0
	v_add_nc_u32_e32 v16, v19, v20
	s_wait_loadcnt 0x0
	ds_store_b16 v16, v1 offset:2112
.LBB14_44:
	s_or_b32 exec_lo, exec_lo, s9
	v_add_nc_u32_e32 v16, 24, v0
	s_delay_alu instid0(VALU_DEP_1) | instskip(NEXT) | instid1(VALU_DEP_1)
	v_ashrrev_i32_e32 v17, 31, v16
	v_cmp_gt_i64_e32 vcc_lo, s[10:11], v[16:17]
	s_and_b32 exec_lo, exec_lo, vcc_lo
	s_cbranch_execz .LBB14_46
; %bb.45:
	v_mul_u64_e32 v[16:17], s[12:13], v[16:17]
	s_delay_alu instid0(VALU_DEP_1)
	v_lshl_add_u64 v[14:15], v[16:17], 1, v[14:15]
	global_load_u16 v1, v[14:15], off
	s_wait_xcnt 0x0
	v_add_nc_u32_e32 v14, v19, v20
	s_wait_loadcnt 0x0
	ds_store_b16 v14, v1 offset:3168
.LBB14_46:
	s_or_b32 exec_lo, exec_lo, s7
	v_lshl_add_u64 v[14:15], s[2:3], 1, v[6:7]
	s_wait_storecnt_dscnt 0x0
	s_barrier_signal -1
	s_barrier_wait -1
	s_and_saveexec_b32 s2, s4
	s_cbranch_execnz .LBB14_131
; %bb.47:
	s_or_b32 exec_lo, exec_lo, s2
	s_and_saveexec_b32 s2, s1
	s_cbranch_execnz .LBB14_132
.LBB14_48:
	s_or_b32 exec_lo, exec_lo, s2
	s_and_saveexec_b32 s2, s5
	s_cbranch_execnz .LBB14_133
.LBB14_49:
	s_or_b32 exec_lo, exec_lo, s2
	s_and_saveexec_b32 s2, s6
	s_cbranch_execz .LBB14_51
.LBB14_50:
	v_mul_u64_e32 v[16:17], s[10:11], v[12:13]
	ds_load_u16 v1, v18 offset:96
	v_lshl_add_u64 v[14:15], v[16:17], 1, v[14:15]
	s_wait_dscnt 0x0
	global_store_b16 v[14:15], v1, off
.LBB14_51:
	s_wait_xcnt 0x0
	s_or_b32 exec_lo, exec_lo, s2
	s_or_b32 s2, s8, 3
	s_mov_b32 s3, 0
	s_delay_alu instid0(SALU_CYCLE_1)
	v_cmp_le_u64_e64 s7, s[16:17], s[2:3]
	s_and_b32 vcc_lo, exec_lo, s7
	s_cbranch_vccnz .LBB14_126
; %bb.52:
	s_mul_u64 s[2:3], s[14:15], s[2:3]
	s_and_saveexec_b32 s7, s0
	s_cbranch_execz .LBB14_61
; %bb.53:
	v_ashrrev_i32_e32 v1, 31, v0
	v_lshl_add_u64 v[14:15], s[2:3], 1, v[2:3]
	s_mov_b32 s9, exec_lo
	s_delay_alu instid0(VALU_DEP_2)
	v_cmpx_gt_i64_e64 s[10:11], v[0:1]
	s_cbranch_execz .LBB14_55
; %bb.54:
	v_mul_u64_e32 v[16:17], s[12:13], v[0:1]
	s_delay_alu instid0(VALU_DEP_1)
	v_lshl_add_u64 v[16:17], v[16:17], 1, v[14:15]
	global_load_u16 v1, v[16:17], off
	s_wait_xcnt 0x0
	v_add_nc_u32_e32 v16, v19, v20
	s_wait_loadcnt 0x0
	ds_store_b16 v16, v1 offset:4224
.LBB14_55:
	s_or_b32 exec_lo, exec_lo, s9
	v_add_nc_u32_e32 v16, 8, v0
	s_mov_b32 s9, exec_lo
	s_delay_alu instid0(VALU_DEP_1) | instskip(NEXT) | instid1(VALU_DEP_1)
	v_ashrrev_i32_e32 v17, 31, v16
	v_cmpx_gt_i64_e64 s[10:11], v[16:17]
	s_cbranch_execz .LBB14_57
; %bb.56:
	v_mul_u64_e32 v[16:17], s[12:13], v[16:17]
	s_delay_alu instid0(VALU_DEP_1)
	v_lshl_add_u64 v[16:17], v[16:17], 1, v[14:15]
	global_load_u16 v1, v[16:17], off
	s_wait_xcnt 0x0
	v_add_nc_u32_e32 v16, v19, v20
	s_wait_loadcnt 0x0
	ds_store_b16 v16, v1 offset:5280
.LBB14_57:
	s_or_b32 exec_lo, exec_lo, s9
	v_add_nc_u32_e32 v16, 16, v0
	s_mov_b32 s9, exec_lo
	s_delay_alu instid0(VALU_DEP_1) | instskip(NEXT) | instid1(VALU_DEP_1)
	v_ashrrev_i32_e32 v17, 31, v16
	v_cmpx_gt_i64_e64 s[10:11], v[16:17]
	s_cbranch_execz .LBB14_59
; %bb.58:
	v_mul_u64_e32 v[16:17], s[12:13], v[16:17]
	s_delay_alu instid0(VALU_DEP_1)
	v_lshl_add_u64 v[16:17], v[16:17], 1, v[14:15]
	global_load_u16 v1, v[16:17], off
	s_wait_xcnt 0x0
	v_add_nc_u32_e32 v16, v19, v20
	s_wait_loadcnt 0x0
	ds_store_b16 v16, v1 offset:6336
.LBB14_59:
	s_or_b32 exec_lo, exec_lo, s9
	v_add_nc_u32_e32 v16, 24, v0
	s_delay_alu instid0(VALU_DEP_1) | instskip(NEXT) | instid1(VALU_DEP_1)
	v_ashrrev_i32_e32 v17, 31, v16
	v_cmp_gt_i64_e32 vcc_lo, s[10:11], v[16:17]
	s_and_b32 exec_lo, exec_lo, vcc_lo
	s_cbranch_execz .LBB14_61
; %bb.60:
	v_mul_u64_e32 v[16:17], s[12:13], v[16:17]
	s_delay_alu instid0(VALU_DEP_1)
	v_lshl_add_u64 v[14:15], v[16:17], 1, v[14:15]
	global_load_u16 v1, v[14:15], off
	s_wait_xcnt 0x0
	v_add_nc_u32_e32 v14, v19, v20
	s_wait_loadcnt 0x0
	ds_store_b16 v14, v1 offset:7392
.LBB14_61:
	s_or_b32 exec_lo, exec_lo, s7
	v_lshl_add_u64 v[14:15], s[2:3], 1, v[6:7]
	s_wait_storecnt_dscnt 0x0
	s_barrier_signal -1
	s_barrier_wait -1
	s_and_saveexec_b32 s2, s4
	s_cbranch_execnz .LBB14_134
; %bb.62:
	s_or_b32 exec_lo, exec_lo, s2
	s_and_saveexec_b32 s2, s1
	s_cbranch_execnz .LBB14_135
.LBB14_63:
	s_or_b32 exec_lo, exec_lo, s2
	s_and_saveexec_b32 s2, s5
	s_cbranch_execnz .LBB14_136
.LBB14_64:
	s_or_b32 exec_lo, exec_lo, s2
	s_and_saveexec_b32 s2, s6
	s_cbranch_execz .LBB14_66
.LBB14_65:
	v_mul_u64_e32 v[16:17], s[10:11], v[12:13]
	ds_load_u16 v1, v18 offset:4320
	v_lshl_add_u64 v[14:15], v[16:17], 1, v[14:15]
	s_wait_dscnt 0x0
	global_store_b16 v[14:15], v1, off
.LBB14_66:
	s_wait_xcnt 0x0
	s_or_b32 exec_lo, exec_lo, s2
	s_or_b32 s2, s8, 4
	s_mov_b32 s3, 0
	s_delay_alu instid0(SALU_CYCLE_1)
	v_cmp_le_u64_e64 s7, s[16:17], s[2:3]
	s_and_b32 vcc_lo, exec_lo, s7
	s_cbranch_vccnz .LBB14_126
; %bb.67:
	s_mul_u64 s[2:3], s[14:15], s[2:3]
	s_and_saveexec_b32 s7, s0
	s_cbranch_execz .LBB14_76
; %bb.68:
	v_ashrrev_i32_e32 v1, 31, v0
	v_lshl_add_u64 v[14:15], s[2:3], 1, v[2:3]
	s_mov_b32 s9, exec_lo
	s_delay_alu instid0(VALU_DEP_2)
	v_cmpx_gt_i64_e64 s[10:11], v[0:1]
	s_cbranch_execz .LBB14_70
; %bb.69:
	v_mul_u64_e32 v[16:17], s[12:13], v[0:1]
	s_delay_alu instid0(VALU_DEP_1)
	v_lshl_add_u64 v[16:17], v[16:17], 1, v[14:15]
	global_load_u16 v1, v[16:17], off
	s_wait_xcnt 0x0
	v_add_nc_u32_e32 v16, v19, v20
	s_wait_loadcnt 0x0
	ds_store_b16 v16, v1
.LBB14_70:
	s_or_b32 exec_lo, exec_lo, s9
	v_add_nc_u32_e32 v16, 8, v0
	s_mov_b32 s9, exec_lo
	s_delay_alu instid0(VALU_DEP_1) | instskip(NEXT) | instid1(VALU_DEP_1)
	v_ashrrev_i32_e32 v17, 31, v16
	v_cmpx_gt_i64_e64 s[10:11], v[16:17]
	s_cbranch_execz .LBB14_72
; %bb.71:
	v_mul_u64_e32 v[16:17], s[12:13], v[16:17]
	s_delay_alu instid0(VALU_DEP_1)
	v_lshl_add_u64 v[16:17], v[16:17], 1, v[14:15]
	global_load_u16 v1, v[16:17], off
	s_wait_xcnt 0x0
	v_add_nc_u32_e32 v16, v19, v20
	s_wait_loadcnt 0x0
	ds_store_b16 v16, v1 offset:1056
.LBB14_72:
	s_or_b32 exec_lo, exec_lo, s9
	v_add_nc_u32_e32 v16, 16, v0
	s_mov_b32 s9, exec_lo
	s_delay_alu instid0(VALU_DEP_1) | instskip(NEXT) | instid1(VALU_DEP_1)
	v_ashrrev_i32_e32 v17, 31, v16
	v_cmpx_gt_i64_e64 s[10:11], v[16:17]
	s_cbranch_execz .LBB14_74
; %bb.73:
	v_mul_u64_e32 v[16:17], s[12:13], v[16:17]
	s_delay_alu instid0(VALU_DEP_1)
	v_lshl_add_u64 v[16:17], v[16:17], 1, v[14:15]
	global_load_u16 v1, v[16:17], off
	s_wait_xcnt 0x0
	v_add_nc_u32_e32 v16, v19, v20
	s_wait_loadcnt 0x0
	ds_store_b16 v16, v1 offset:2112
.LBB14_74:
	s_or_b32 exec_lo, exec_lo, s9
	v_add_nc_u32_e32 v16, 24, v0
	s_delay_alu instid0(VALU_DEP_1) | instskip(NEXT) | instid1(VALU_DEP_1)
	v_ashrrev_i32_e32 v17, 31, v16
	v_cmp_gt_i64_e32 vcc_lo, s[10:11], v[16:17]
	s_and_b32 exec_lo, exec_lo, vcc_lo
	s_cbranch_execz .LBB14_76
; %bb.75:
	v_mul_u64_e32 v[16:17], s[12:13], v[16:17]
	s_delay_alu instid0(VALU_DEP_1)
	v_lshl_add_u64 v[14:15], v[16:17], 1, v[14:15]
	global_load_u16 v1, v[14:15], off
	s_wait_xcnt 0x0
	v_add_nc_u32_e32 v14, v19, v20
	s_wait_loadcnt 0x0
	ds_store_b16 v14, v1 offset:3168
.LBB14_76:
	s_or_b32 exec_lo, exec_lo, s7
	v_lshl_add_u64 v[14:15], s[2:3], 1, v[6:7]
	s_wait_storecnt_dscnt 0x0
	s_barrier_signal -1
	s_barrier_wait -1
	s_and_saveexec_b32 s2, s4
	s_cbranch_execnz .LBB14_137
; %bb.77:
	s_or_b32 exec_lo, exec_lo, s2
	s_and_saveexec_b32 s2, s1
	s_cbranch_execnz .LBB14_138
.LBB14_78:
	s_or_b32 exec_lo, exec_lo, s2
	s_and_saveexec_b32 s2, s5
	s_cbranch_execnz .LBB14_139
.LBB14_79:
	s_or_b32 exec_lo, exec_lo, s2
	s_and_saveexec_b32 s2, s6
	s_cbranch_execz .LBB14_81
.LBB14_80:
	v_mul_u64_e32 v[16:17], s[10:11], v[12:13]
	ds_load_u16 v1, v18 offset:96
	v_lshl_add_u64 v[14:15], v[16:17], 1, v[14:15]
	s_wait_dscnt 0x0
	global_store_b16 v[14:15], v1, off
.LBB14_81:
	s_wait_xcnt 0x0
	s_or_b32 exec_lo, exec_lo, s2
	s_or_b32 s2, s8, 5
	s_mov_b32 s3, 0
	s_delay_alu instid0(SALU_CYCLE_1)
	v_cmp_le_u64_e64 s7, s[16:17], s[2:3]
	s_and_b32 vcc_lo, exec_lo, s7
	s_cbranch_vccnz .LBB14_126
; %bb.82:
	s_mul_u64 s[2:3], s[14:15], s[2:3]
	s_and_saveexec_b32 s7, s0
	s_cbranch_execz .LBB14_91
; %bb.83:
	v_ashrrev_i32_e32 v1, 31, v0
	v_lshl_add_u64 v[14:15], s[2:3], 1, v[2:3]
	s_mov_b32 s9, exec_lo
	s_delay_alu instid0(VALU_DEP_2)
	v_cmpx_gt_i64_e64 s[10:11], v[0:1]
	s_cbranch_execz .LBB14_85
; %bb.84:
	v_mul_u64_e32 v[16:17], s[12:13], v[0:1]
	s_delay_alu instid0(VALU_DEP_1)
	v_lshl_add_u64 v[16:17], v[16:17], 1, v[14:15]
	global_load_u16 v1, v[16:17], off
	s_wait_xcnt 0x0
	v_add_nc_u32_e32 v16, v19, v20
	s_wait_loadcnt 0x0
	ds_store_b16 v16, v1 offset:4224
.LBB14_85:
	s_or_b32 exec_lo, exec_lo, s9
	v_add_nc_u32_e32 v16, 8, v0
	s_mov_b32 s9, exec_lo
	s_delay_alu instid0(VALU_DEP_1) | instskip(NEXT) | instid1(VALU_DEP_1)
	v_ashrrev_i32_e32 v17, 31, v16
	v_cmpx_gt_i64_e64 s[10:11], v[16:17]
	s_cbranch_execz .LBB14_87
; %bb.86:
	v_mul_u64_e32 v[16:17], s[12:13], v[16:17]
	s_delay_alu instid0(VALU_DEP_1)
	v_lshl_add_u64 v[16:17], v[16:17], 1, v[14:15]
	global_load_u16 v1, v[16:17], off
	s_wait_xcnt 0x0
	v_add_nc_u32_e32 v16, v19, v20
	s_wait_loadcnt 0x0
	ds_store_b16 v16, v1 offset:5280
.LBB14_87:
	s_or_b32 exec_lo, exec_lo, s9
	v_add_nc_u32_e32 v16, 16, v0
	s_mov_b32 s9, exec_lo
	s_delay_alu instid0(VALU_DEP_1) | instskip(NEXT) | instid1(VALU_DEP_1)
	v_ashrrev_i32_e32 v17, 31, v16
	v_cmpx_gt_i64_e64 s[10:11], v[16:17]
	s_cbranch_execz .LBB14_89
; %bb.88:
	v_mul_u64_e32 v[16:17], s[12:13], v[16:17]
	s_delay_alu instid0(VALU_DEP_1)
	v_lshl_add_u64 v[16:17], v[16:17], 1, v[14:15]
	global_load_u16 v1, v[16:17], off
	s_wait_xcnt 0x0
	v_add_nc_u32_e32 v16, v19, v20
	s_wait_loadcnt 0x0
	ds_store_b16 v16, v1 offset:6336
.LBB14_89:
	s_or_b32 exec_lo, exec_lo, s9
	v_add_nc_u32_e32 v16, 24, v0
	s_delay_alu instid0(VALU_DEP_1) | instskip(NEXT) | instid1(VALU_DEP_1)
	v_ashrrev_i32_e32 v17, 31, v16
	v_cmp_gt_i64_e32 vcc_lo, s[10:11], v[16:17]
	s_and_b32 exec_lo, exec_lo, vcc_lo
	s_cbranch_execz .LBB14_91
; %bb.90:
	v_mul_u64_e32 v[16:17], s[12:13], v[16:17]
	s_delay_alu instid0(VALU_DEP_1)
	v_lshl_add_u64 v[14:15], v[16:17], 1, v[14:15]
	global_load_u16 v1, v[14:15], off
	s_wait_xcnt 0x0
	v_add_nc_u32_e32 v14, v19, v20
	s_wait_loadcnt 0x0
	ds_store_b16 v14, v1 offset:7392
.LBB14_91:
	s_or_b32 exec_lo, exec_lo, s7
	v_lshl_add_u64 v[14:15], s[2:3], 1, v[6:7]
	s_wait_storecnt_dscnt 0x0
	s_barrier_signal -1
	s_barrier_wait -1
	s_and_saveexec_b32 s2, s4
	s_cbranch_execnz .LBB14_140
; %bb.92:
	s_or_b32 exec_lo, exec_lo, s2
	s_and_saveexec_b32 s2, s1
	s_cbranch_execnz .LBB14_141
.LBB14_93:
	s_or_b32 exec_lo, exec_lo, s2
	s_and_saveexec_b32 s2, s5
	s_cbranch_execnz .LBB14_142
.LBB14_94:
	s_or_b32 exec_lo, exec_lo, s2
	s_and_saveexec_b32 s2, s6
	s_cbranch_execz .LBB14_96
.LBB14_95:
	v_mul_u64_e32 v[16:17], s[10:11], v[12:13]
	ds_load_u16 v1, v18 offset:4320
	v_lshl_add_u64 v[14:15], v[16:17], 1, v[14:15]
	s_wait_dscnt 0x0
	global_store_b16 v[14:15], v1, off
.LBB14_96:
	s_wait_xcnt 0x0
	s_or_b32 exec_lo, exec_lo, s2
	s_or_b32 s2, s8, 6
	s_mov_b32 s3, 0
	s_delay_alu instid0(SALU_CYCLE_1)
	v_cmp_le_u64_e64 s7, s[16:17], s[2:3]
	s_and_b32 vcc_lo, exec_lo, s7
	s_cbranch_vccnz .LBB14_126
; %bb.97:
	s_mul_u64 s[2:3], s[14:15], s[2:3]
	s_and_saveexec_b32 s7, s0
	s_cbranch_execz .LBB14_106
; %bb.98:
	v_ashrrev_i32_e32 v1, 31, v0
	v_lshl_add_u64 v[14:15], s[2:3], 1, v[2:3]
	s_mov_b32 s9, exec_lo
	s_delay_alu instid0(VALU_DEP_2)
	v_cmpx_gt_i64_e64 s[10:11], v[0:1]
	s_cbranch_execz .LBB14_100
; %bb.99:
	v_mul_u64_e32 v[16:17], s[12:13], v[0:1]
	s_delay_alu instid0(VALU_DEP_1)
	v_lshl_add_u64 v[16:17], v[16:17], 1, v[14:15]
	global_load_u16 v1, v[16:17], off
	s_wait_xcnt 0x0
	v_add_nc_u32_e32 v16, v19, v20
	s_wait_loadcnt 0x0
	ds_store_b16 v16, v1
.LBB14_100:
	s_or_b32 exec_lo, exec_lo, s9
	v_add_nc_u32_e32 v16, 8, v0
	s_mov_b32 s9, exec_lo
	s_delay_alu instid0(VALU_DEP_1) | instskip(NEXT) | instid1(VALU_DEP_1)
	v_ashrrev_i32_e32 v17, 31, v16
	v_cmpx_gt_i64_e64 s[10:11], v[16:17]
	s_cbranch_execz .LBB14_102
; %bb.101:
	v_mul_u64_e32 v[16:17], s[12:13], v[16:17]
	s_delay_alu instid0(VALU_DEP_1)
	v_lshl_add_u64 v[16:17], v[16:17], 1, v[14:15]
	global_load_u16 v1, v[16:17], off
	s_wait_xcnt 0x0
	v_add_nc_u32_e32 v16, v19, v20
	s_wait_loadcnt 0x0
	ds_store_b16 v16, v1 offset:1056
.LBB14_102:
	s_or_b32 exec_lo, exec_lo, s9
	v_add_nc_u32_e32 v16, 16, v0
	s_mov_b32 s9, exec_lo
	s_delay_alu instid0(VALU_DEP_1) | instskip(NEXT) | instid1(VALU_DEP_1)
	v_ashrrev_i32_e32 v17, 31, v16
	v_cmpx_gt_i64_e64 s[10:11], v[16:17]
	s_cbranch_execz .LBB14_104
; %bb.103:
	v_mul_u64_e32 v[16:17], s[12:13], v[16:17]
	s_delay_alu instid0(VALU_DEP_1)
	v_lshl_add_u64 v[16:17], v[16:17], 1, v[14:15]
	global_load_u16 v1, v[16:17], off
	s_wait_xcnt 0x0
	v_add_nc_u32_e32 v16, v19, v20
	s_wait_loadcnt 0x0
	ds_store_b16 v16, v1 offset:2112
.LBB14_104:
	s_or_b32 exec_lo, exec_lo, s9
	v_add_nc_u32_e32 v16, 24, v0
	s_delay_alu instid0(VALU_DEP_1) | instskip(NEXT) | instid1(VALU_DEP_1)
	v_ashrrev_i32_e32 v17, 31, v16
	v_cmp_gt_i64_e32 vcc_lo, s[10:11], v[16:17]
	s_and_b32 exec_lo, exec_lo, vcc_lo
	s_cbranch_execz .LBB14_106
; %bb.105:
	v_mul_u64_e32 v[16:17], s[12:13], v[16:17]
	s_delay_alu instid0(VALU_DEP_1)
	v_lshl_add_u64 v[14:15], v[16:17], 1, v[14:15]
	global_load_u16 v1, v[14:15], off
	s_wait_xcnt 0x0
	v_add_nc_u32_e32 v14, v19, v20
	s_wait_loadcnt 0x0
	ds_store_b16 v14, v1 offset:3168
.LBB14_106:
	s_or_b32 exec_lo, exec_lo, s7
	v_lshl_add_u64 v[14:15], s[2:3], 1, v[6:7]
	s_wait_storecnt_dscnt 0x0
	s_barrier_signal -1
	s_barrier_wait -1
	s_and_saveexec_b32 s2, s4
	s_cbranch_execnz .LBB14_143
; %bb.107:
	s_or_b32 exec_lo, exec_lo, s2
	s_and_saveexec_b32 s2, s1
	s_cbranch_execnz .LBB14_144
.LBB14_108:
	s_or_b32 exec_lo, exec_lo, s2
	s_and_saveexec_b32 s2, s5
	s_cbranch_execnz .LBB14_145
.LBB14_109:
	s_or_b32 exec_lo, exec_lo, s2
	s_and_saveexec_b32 s2, s6
	s_cbranch_execz .LBB14_111
.LBB14_110:
	v_mul_u64_e32 v[16:17], s[10:11], v[12:13]
	ds_load_u16 v1, v18 offset:96
	v_lshl_add_u64 v[14:15], v[16:17], 1, v[14:15]
	s_wait_dscnt 0x0
	global_store_b16 v[14:15], v1, off
.LBB14_111:
	s_wait_xcnt 0x0
	s_or_b32 exec_lo, exec_lo, s2
	s_or_b32 s2, s8, 7
	s_mov_b32 s3, 0
	s_delay_alu instid0(SALU_CYCLE_1)
	v_cmp_le_u64_e64 s7, s[16:17], s[2:3]
	s_and_b32 vcc_lo, exec_lo, s7
	s_cbranch_vccnz .LBB14_126
; %bb.112:
	s_mul_u64 s[2:3], s[14:15], s[2:3]
	s_and_saveexec_b32 s7, s0
	s_cbranch_execz .LBB14_121
; %bb.113:
	v_ashrrev_i32_e32 v1, 31, v0
	v_lshl_add_u64 v[2:3], s[2:3], 1, v[2:3]
	v_add_nc_u32_e32 v16, v19, v20
	s_mov_b32 s0, exec_lo
	s_delay_alu instid0(VALU_DEP_3)
	v_cmpx_gt_i64_e64 s[10:11], v[0:1]
	s_cbranch_execz .LBB14_115
; %bb.114:
	v_mul_u64_e32 v[14:15], s[12:13], v[0:1]
	s_delay_alu instid0(VALU_DEP_1)
	v_lshl_add_u64 v[14:15], v[14:15], 1, v[2:3]
	global_load_u16 v1, v[14:15], off
	s_wait_loadcnt 0x0
	ds_store_b16 v16, v1 offset:4224
.LBB14_115:
	s_wait_xcnt 0x0
	s_or_b32 exec_lo, exec_lo, s0
	v_add_nc_u32_e32 v14, 8, v0
	s_mov_b32 s0, exec_lo
	s_delay_alu instid0(VALU_DEP_1) | instskip(NEXT) | instid1(VALU_DEP_1)
	v_ashrrev_i32_e32 v15, 31, v14
	v_cmpx_gt_i64_e64 s[10:11], v[14:15]
	s_cbranch_execz .LBB14_117
; %bb.116:
	v_mul_u64_e32 v[14:15], s[12:13], v[14:15]
	s_delay_alu instid0(VALU_DEP_1)
	v_lshl_add_u64 v[14:15], v[14:15], 1, v[2:3]
	global_load_u16 v1, v[14:15], off
	s_wait_loadcnt 0x0
	ds_store_b16 v16, v1 offset:5280
.LBB14_117:
	s_wait_xcnt 0x0
	s_or_b32 exec_lo, exec_lo, s0
	v_add_nc_u32_e32 v14, 16, v0
	s_mov_b32 s0, exec_lo
	s_delay_alu instid0(VALU_DEP_1) | instskip(NEXT) | instid1(VALU_DEP_1)
	v_ashrrev_i32_e32 v15, 31, v14
	v_cmpx_gt_i64_e64 s[10:11], v[14:15]
	s_cbranch_execz .LBB14_119
; %bb.118:
	v_mul_u64_e32 v[14:15], s[12:13], v[14:15]
	s_delay_alu instid0(VALU_DEP_1)
	v_lshl_add_u64 v[14:15], v[14:15], 1, v[2:3]
	global_load_u16 v1, v[14:15], off
	s_wait_loadcnt 0x0
	ds_store_b16 v16, v1 offset:6336
.LBB14_119:
	s_wait_xcnt 0x0
	s_or_b32 exec_lo, exec_lo, s0
	v_add_nc_u32_e32 v0, 24, v0
	s_delay_alu instid0(VALU_DEP_1) | instskip(NEXT) | instid1(VALU_DEP_1)
	v_ashrrev_i32_e32 v1, 31, v0
	v_cmp_gt_i64_e32 vcc_lo, s[10:11], v[0:1]
	s_and_b32 exec_lo, exec_lo, vcc_lo
	s_cbranch_execz .LBB14_121
; %bb.120:
	v_mul_u64_e32 v[0:1], s[12:13], v[0:1]
	s_delay_alu instid0(VALU_DEP_1)
	v_lshl_add_u64 v[0:1], v[0:1], 1, v[2:3]
	global_load_u16 v0, v[0:1], off
	s_wait_loadcnt 0x0
	ds_store_b16 v16, v0 offset:7392
.LBB14_121:
	s_wait_xcnt 0x0
	s_or_b32 exec_lo, exec_lo, s7
	v_lshl_add_u64 v[0:1], s[2:3], 1, v[6:7]
	s_wait_storecnt_dscnt 0x0
	s_barrier_signal -1
	s_barrier_wait -1
	s_and_saveexec_b32 s0, s4
	s_cbranch_execnz .LBB14_146
; %bb.122:
	s_or_b32 exec_lo, exec_lo, s0
	s_and_saveexec_b32 s0, s1
	s_cbranch_execnz .LBB14_147
.LBB14_123:
	s_or_b32 exec_lo, exec_lo, s0
	s_and_saveexec_b32 s0, s5
	s_cbranch_execnz .LBB14_148
.LBB14_124:
	s_or_b32 exec_lo, exec_lo, s0
	s_and_saveexec_b32 s0, s6
	s_cbranch_execz .LBB14_126
.LBB14_125:
	v_mul_u64_e32 v[2:3], s[10:11], v[12:13]
	ds_load_u16 v4, v18 offset:4320
	v_lshl_add_u64 v[0:1], v[2:3], 1, v[0:1]
	s_wait_dscnt 0x0
	global_store_b16 v[0:1], v4, off
.LBB14_126:
	s_endpgm
.LBB14_127:
                                        ; implicit-def: $sgpr16_sgpr17
	s_branch .LBB14_2
.LBB14_128:
	v_mul_u64_e32 v[16:17], s[10:11], v[4:5]
	ds_load_u16 v1, v18 offset:4224
	v_lshl_add_u64 v[16:17], v[16:17], 1, v[14:15]
	s_wait_dscnt 0x0
	global_store_b16 v[16:17], v1, off
	s_wait_xcnt 0x0
	s_or_b32 exec_lo, exec_lo, s2
	s_and_saveexec_b32 s2, s1
	s_cbranch_execz .LBB14_33
.LBB14_129:
	v_mul_u64_e32 v[16:17], s[10:11], v[8:9]
	ds_load_u16 v1, v18 offset:4256
	v_lshl_add_u64 v[16:17], v[16:17], 1, v[14:15]
	s_wait_dscnt 0x0
	global_store_b16 v[16:17], v1, off
	s_wait_xcnt 0x0
	s_or_b32 exec_lo, exec_lo, s2
	s_and_saveexec_b32 s2, s5
	s_cbranch_execz .LBB14_34
.LBB14_130:
	v_mul_u64_e32 v[16:17], s[10:11], v[10:11]
	ds_load_u16 v1, v18 offset:4288
	v_lshl_add_u64 v[16:17], v[16:17], 1, v[14:15]
	s_wait_dscnt 0x0
	global_store_b16 v[16:17], v1, off
	s_wait_xcnt 0x0
	s_or_b32 exec_lo, exec_lo, s2
	s_and_saveexec_b32 s2, s6
	s_cbranch_execnz .LBB14_35
	s_branch .LBB14_36
.LBB14_131:
	v_mul_u64_e32 v[16:17], s[10:11], v[4:5]
	ds_load_u16 v1, v18
	v_lshl_add_u64 v[16:17], v[16:17], 1, v[14:15]
	s_wait_dscnt 0x0
	global_store_b16 v[16:17], v1, off
	s_wait_xcnt 0x0
	s_or_b32 exec_lo, exec_lo, s2
	s_and_saveexec_b32 s2, s1
	s_cbranch_execz .LBB14_48
.LBB14_132:
	v_mul_u64_e32 v[16:17], s[10:11], v[8:9]
	ds_load_u16 v1, v18 offset:32
	v_lshl_add_u64 v[16:17], v[16:17], 1, v[14:15]
	s_wait_dscnt 0x0
	global_store_b16 v[16:17], v1, off
	s_wait_xcnt 0x0
	s_or_b32 exec_lo, exec_lo, s2
	s_and_saveexec_b32 s2, s5
	s_cbranch_execz .LBB14_49
.LBB14_133:
	v_mul_u64_e32 v[16:17], s[10:11], v[10:11]
	ds_load_u16 v1, v18 offset:64
	v_lshl_add_u64 v[16:17], v[16:17], 1, v[14:15]
	s_wait_dscnt 0x0
	global_store_b16 v[16:17], v1, off
	s_wait_xcnt 0x0
	s_or_b32 exec_lo, exec_lo, s2
	s_and_saveexec_b32 s2, s6
	s_cbranch_execnz .LBB14_50
	s_branch .LBB14_51
.LBB14_134:
	v_mul_u64_e32 v[16:17], s[10:11], v[4:5]
	ds_load_u16 v1, v18 offset:4224
	v_lshl_add_u64 v[16:17], v[16:17], 1, v[14:15]
	s_wait_dscnt 0x0
	global_store_b16 v[16:17], v1, off
	s_wait_xcnt 0x0
	s_or_b32 exec_lo, exec_lo, s2
	s_and_saveexec_b32 s2, s1
	s_cbranch_execz .LBB14_63
.LBB14_135:
	v_mul_u64_e32 v[16:17], s[10:11], v[8:9]
	ds_load_u16 v1, v18 offset:4256
	v_lshl_add_u64 v[16:17], v[16:17], 1, v[14:15]
	s_wait_dscnt 0x0
	global_store_b16 v[16:17], v1, off
	s_wait_xcnt 0x0
	s_or_b32 exec_lo, exec_lo, s2
	s_and_saveexec_b32 s2, s5
	s_cbranch_execz .LBB14_64
.LBB14_136:
	v_mul_u64_e32 v[16:17], s[10:11], v[10:11]
	ds_load_u16 v1, v18 offset:4288
	v_lshl_add_u64 v[16:17], v[16:17], 1, v[14:15]
	s_wait_dscnt 0x0
	global_store_b16 v[16:17], v1, off
	s_wait_xcnt 0x0
	s_or_b32 exec_lo, exec_lo, s2
	s_and_saveexec_b32 s2, s6
	s_cbranch_execnz .LBB14_65
	s_branch .LBB14_66
.LBB14_137:
	v_mul_u64_e32 v[16:17], s[10:11], v[4:5]
	ds_load_u16 v1, v18
	v_lshl_add_u64 v[16:17], v[16:17], 1, v[14:15]
	s_wait_dscnt 0x0
	global_store_b16 v[16:17], v1, off
	s_wait_xcnt 0x0
	s_or_b32 exec_lo, exec_lo, s2
	s_and_saveexec_b32 s2, s1
	s_cbranch_execz .LBB14_78
.LBB14_138:
	v_mul_u64_e32 v[16:17], s[10:11], v[8:9]
	ds_load_u16 v1, v18 offset:32
	v_lshl_add_u64 v[16:17], v[16:17], 1, v[14:15]
	s_wait_dscnt 0x0
	global_store_b16 v[16:17], v1, off
	s_wait_xcnt 0x0
	s_or_b32 exec_lo, exec_lo, s2
	s_and_saveexec_b32 s2, s5
	s_cbranch_execz .LBB14_79
.LBB14_139:
	v_mul_u64_e32 v[16:17], s[10:11], v[10:11]
	ds_load_u16 v1, v18 offset:64
	v_lshl_add_u64 v[16:17], v[16:17], 1, v[14:15]
	s_wait_dscnt 0x0
	global_store_b16 v[16:17], v1, off
	s_wait_xcnt 0x0
	s_or_b32 exec_lo, exec_lo, s2
	s_and_saveexec_b32 s2, s6
	s_cbranch_execnz .LBB14_80
	s_branch .LBB14_81
.LBB14_140:
	v_mul_u64_e32 v[16:17], s[10:11], v[4:5]
	ds_load_u16 v1, v18 offset:4224
	v_lshl_add_u64 v[16:17], v[16:17], 1, v[14:15]
	s_wait_dscnt 0x0
	global_store_b16 v[16:17], v1, off
	s_wait_xcnt 0x0
	s_or_b32 exec_lo, exec_lo, s2
	s_and_saveexec_b32 s2, s1
	s_cbranch_execz .LBB14_93
.LBB14_141:
	v_mul_u64_e32 v[16:17], s[10:11], v[8:9]
	ds_load_u16 v1, v18 offset:4256
	v_lshl_add_u64 v[16:17], v[16:17], 1, v[14:15]
	s_wait_dscnt 0x0
	global_store_b16 v[16:17], v1, off
	s_wait_xcnt 0x0
	s_or_b32 exec_lo, exec_lo, s2
	s_and_saveexec_b32 s2, s5
	s_cbranch_execz .LBB14_94
.LBB14_142:
	v_mul_u64_e32 v[16:17], s[10:11], v[10:11]
	ds_load_u16 v1, v18 offset:4288
	v_lshl_add_u64 v[16:17], v[16:17], 1, v[14:15]
	s_wait_dscnt 0x0
	global_store_b16 v[16:17], v1, off
	s_wait_xcnt 0x0
	s_or_b32 exec_lo, exec_lo, s2
	s_and_saveexec_b32 s2, s6
	s_cbranch_execnz .LBB14_95
	s_branch .LBB14_96
.LBB14_143:
	v_mul_u64_e32 v[16:17], s[10:11], v[4:5]
	ds_load_u16 v1, v18
	v_lshl_add_u64 v[16:17], v[16:17], 1, v[14:15]
	s_wait_dscnt 0x0
	global_store_b16 v[16:17], v1, off
	s_wait_xcnt 0x0
	s_or_b32 exec_lo, exec_lo, s2
	s_and_saveexec_b32 s2, s1
	s_cbranch_execz .LBB14_108
.LBB14_144:
	v_mul_u64_e32 v[16:17], s[10:11], v[8:9]
	ds_load_u16 v1, v18 offset:32
	v_lshl_add_u64 v[16:17], v[16:17], 1, v[14:15]
	s_wait_dscnt 0x0
	global_store_b16 v[16:17], v1, off
	s_wait_xcnt 0x0
	s_or_b32 exec_lo, exec_lo, s2
	s_and_saveexec_b32 s2, s5
	s_cbranch_execz .LBB14_109
.LBB14_145:
	v_mul_u64_e32 v[16:17], s[10:11], v[10:11]
	ds_load_u16 v1, v18 offset:64
	v_lshl_add_u64 v[16:17], v[16:17], 1, v[14:15]
	s_wait_dscnt 0x0
	global_store_b16 v[16:17], v1, off
	s_wait_xcnt 0x0
	s_or_b32 exec_lo, exec_lo, s2
	s_and_saveexec_b32 s2, s6
	s_cbranch_execnz .LBB14_110
	s_branch .LBB14_111
.LBB14_146:
	v_mul_u64_e32 v[2:3], s[10:11], v[4:5]
	ds_load_u16 v4, v18 offset:4224
	v_lshl_add_u64 v[2:3], v[2:3], 1, v[0:1]
	s_wait_dscnt 0x0
	global_store_b16 v[2:3], v4, off
	s_wait_xcnt 0x0
	s_or_b32 exec_lo, exec_lo, s0
	s_and_saveexec_b32 s0, s1
	s_cbranch_execz .LBB14_123
.LBB14_147:
	v_mul_u64_e32 v[2:3], s[10:11], v[8:9]
	ds_load_u16 v4, v18 offset:4256
	v_lshl_add_u64 v[2:3], v[2:3], 1, v[0:1]
	s_wait_dscnt 0x0
	global_store_b16 v[2:3], v4, off
	s_wait_xcnt 0x0
	s_or_b32 exec_lo, exec_lo, s0
	s_and_saveexec_b32 s0, s5
	s_cbranch_execz .LBB14_124
.LBB14_148:
	v_mul_u64_e32 v[2:3], s[10:11], v[10:11]
	ds_load_u16 v4, v18 offset:4288
	v_lshl_add_u64 v[2:3], v[2:3], 1, v[0:1]
	s_wait_dscnt 0x0
	global_store_b16 v[2:3], v4, off
	s_wait_xcnt 0x0
	s_or_b32 exec_lo, exec_lo, s0
	s_and_saveexec_b32 s0, s6
	s_cbranch_execnz .LBB14_125
	s_branch .LBB14_126
	.section	.rodata,"a",@progbits
	.p2align	6, 0x0
	.amdhsa_kernel _ZL20cpy_scalar_transposeI14__hip_bfloat16EvPKcPclllllllllllllll
		.amdhsa_group_segment_fixed_size 8448
		.amdhsa_private_segment_fixed_size 0
		.amdhsa_kernarg_size 136
		.amdhsa_user_sgpr_count 2
		.amdhsa_user_sgpr_dispatch_ptr 0
		.amdhsa_user_sgpr_queue_ptr 0
		.amdhsa_user_sgpr_kernarg_segment_ptr 1
		.amdhsa_user_sgpr_dispatch_id 0
		.amdhsa_user_sgpr_kernarg_preload_length 0
		.amdhsa_user_sgpr_kernarg_preload_offset 0
		.amdhsa_user_sgpr_private_segment_size 0
		.amdhsa_wavefront_size32 1
		.amdhsa_uses_dynamic_stack 0
		.amdhsa_enable_private_segment 0
		.amdhsa_system_sgpr_workgroup_id_x 1
		.amdhsa_system_sgpr_workgroup_id_y 1
		.amdhsa_system_sgpr_workgroup_id_z 1
		.amdhsa_system_sgpr_workgroup_info 0
		.amdhsa_system_vgpr_workitem_id 1
		.amdhsa_next_free_vgpr 21
		.amdhsa_next_free_sgpr 30
		.amdhsa_named_barrier_count 0
		.amdhsa_reserve_vcc 1
		.amdhsa_float_round_mode_32 0
		.amdhsa_float_round_mode_16_64 0
		.amdhsa_float_denorm_mode_32 3
		.amdhsa_float_denorm_mode_16_64 3
		.amdhsa_fp16_overflow 0
		.amdhsa_memory_ordered 1
		.amdhsa_forward_progress 1
		.amdhsa_inst_pref_size 48
		.amdhsa_round_robin_scheduling 0
		.amdhsa_exception_fp_ieee_invalid_op 0
		.amdhsa_exception_fp_denorm_src 0
		.amdhsa_exception_fp_ieee_div_zero 0
		.amdhsa_exception_fp_ieee_overflow 0
		.amdhsa_exception_fp_ieee_underflow 0
		.amdhsa_exception_fp_ieee_inexact 0
		.amdhsa_exception_int_div_zero 0
	.end_amdhsa_kernel
	.section	.text._ZL20cpy_scalar_transposeI14__hip_bfloat16EvPKcPclllllllllllllll,"axG",@progbits,_ZL20cpy_scalar_transposeI14__hip_bfloat16EvPKcPclllllllllllllll,comdat
.Lfunc_end14:
	.size	_ZL20cpy_scalar_transposeI14__hip_bfloat16EvPKcPclllllllllllllll, .Lfunc_end14-_ZL20cpy_scalar_transposeI14__hip_bfloat16EvPKcPclllllllllllllll
                                        ; -- End function
	.set _ZL20cpy_scalar_transposeI14__hip_bfloat16EvPKcPclllllllllllllll.num_vgpr, 21
	.set _ZL20cpy_scalar_transposeI14__hip_bfloat16EvPKcPclllllllllllllll.num_agpr, 0
	.set _ZL20cpy_scalar_transposeI14__hip_bfloat16EvPKcPclllllllllllllll.numbered_sgpr, 30
	.set _ZL20cpy_scalar_transposeI14__hip_bfloat16EvPKcPclllllllllllllll.num_named_barrier, 0
	.set _ZL20cpy_scalar_transposeI14__hip_bfloat16EvPKcPclllllllllllllll.private_seg_size, 0
	.set _ZL20cpy_scalar_transposeI14__hip_bfloat16EvPKcPclllllllllllllll.uses_vcc, 1
	.set _ZL20cpy_scalar_transposeI14__hip_bfloat16EvPKcPclllllllllllllll.uses_flat_scratch, 0
	.set _ZL20cpy_scalar_transposeI14__hip_bfloat16EvPKcPclllllllllllllll.has_dyn_sized_stack, 0
	.set _ZL20cpy_scalar_transposeI14__hip_bfloat16EvPKcPclllllllllllllll.has_recursion, 0
	.set _ZL20cpy_scalar_transposeI14__hip_bfloat16EvPKcPclllllllllllllll.has_indirect_call, 0
	.section	.AMDGPU.csdata,"",@progbits
; Kernel info:
; codeLenInByte = 6020
; TotalNumSgprs: 32
; NumVgprs: 21
; ScratchSize: 0
; MemoryBound: 0
; FloatMode: 240
; IeeeMode: 1
; LDSByteSize: 8448 bytes/workgroup (compile time only)
; SGPRBlocks: 0
; VGPRBlocks: 1
; NumSGPRsForWavesPerEU: 32
; NumVGPRsForWavesPerEU: 21
; NamedBarCnt: 0
; Occupancy: 16
; WaveLimiterHint : 0
; COMPUTE_PGM_RSRC2:SCRATCH_EN: 0
; COMPUTE_PGM_RSRC2:USER_SGPR: 2
; COMPUTE_PGM_RSRC2:TRAP_HANDLER: 0
; COMPUTE_PGM_RSRC2:TGID_X_EN: 1
; COMPUTE_PGM_RSRC2:TGID_Y_EN: 1
; COMPUTE_PGM_RSRC2:TGID_Z_EN: 1
; COMPUTE_PGM_RSRC2:TIDIG_COMP_CNT: 1
	.section	.text._ZL10cpy_scalarIXadL_ZL12cpy_1_scalarIf14__hip_bfloat16EvPKcPcEEEvS3_S4_lllllllllllllll,"axG",@progbits,_ZL10cpy_scalarIXadL_ZL12cpy_1_scalarIf14__hip_bfloat16EvPKcPcEEEvS3_S4_lllllllllllllll,comdat
	.globl	_ZL10cpy_scalarIXadL_ZL12cpy_1_scalarIf14__hip_bfloat16EvPKcPcEEEvS3_S4_lllllllllllllll ; -- Begin function _ZL10cpy_scalarIXadL_ZL12cpy_1_scalarIf14__hip_bfloat16EvPKcPcEEEvS3_S4_lllllllllllllll
	.p2align	8
	.type	_ZL10cpy_scalarIXadL_ZL12cpy_1_scalarIf14__hip_bfloat16EvPKcPcEEEvS3_S4_lllllllllllllll,@function
_ZL10cpy_scalarIXadL_ZL12cpy_1_scalarIf14__hip_bfloat16EvPKcPcEEEvS3_S4_lllllllllllllll: ; @_ZL10cpy_scalarIXadL_ZL12cpy_1_scalarIf14__hip_bfloat16EvPKcPcEEEvS3_S4_lllllllllllllll
; %bb.0:
	s_load_b32 s2, s[0:1], 0x94
	s_bfe_u32 s4, ttmp6, 0x4000c
	v_mov_b32_e32 v2, 0
	s_add_co_i32 s21, s4, 1
	s_load_b512 s[4:19], s[0:1], 0x0
	s_and_b32 s3, ttmp6, 15
	s_mul_i32 s21, ttmp9, s21
	s_getreg_b32 s20, hwreg(HW_REG_IB_STS2, 6, 4)
	v_mov_b32_e32 v1, v2
	s_add_co_i32 s3, s3, s21
	s_wait_kmcnt 0x0
	s_and_b32 s2, s2, 0xffff
	s_cmp_eq_u32 s20, 0
	s_cselect_b32 s3, ttmp9, s3
	s_delay_alu instid0(SALU_CYCLE_1) | instskip(SKIP_1) | instid1(VALU_DEP_1)
	v_mad_nc_u64_u32 v[4:5], s2, s3, v[0:1]
	s_mov_b32 s2, exec_lo
	v_cmpx_gt_i64_e64 s[8:9], v[4:5]
	s_cbranch_execz .LBB15_26
; %bb.1:
	s_mul_u64 s[8:9], s[12:13], s[10:11]
                                        ; implicit-def: $vgpr0_vgpr1
	s_mov_b32 s2, exec_lo
	s_mul_u64 s[12:13], s[8:9], s[14:15]
	s_delay_alu instid0(SALU_CYCLE_1) | instskip(NEXT) | instid1(VALU_DEP_1)
	v_dual_ashrrev_i32 v8, 31, v5 :: v_dual_bitop2_b32 v3, s13, v5 bitop3:0x54
	v_cmpx_ne_u64_e32 0, v[2:3]
	s_xor_b32 s3, exec_lo, s2
	s_cbranch_execz .LBB15_3
; %bb.2:
	s_ashr_i32 s14, s13, 31
	s_mov_b32 s29, 0
	s_mov_b32 s15, s14
	v_dual_mov_b32 v9, v8 :: v_dual_mov_b32 v3, 0
	s_add_nc_u64 s[20:21], s[12:13], s[14:15]
	s_delay_alu instid0(SALU_CYCLE_1) | instskip(NEXT) | instid1(VALU_DEP_1)
	s_xor_b64 s[20:21], s[20:21], s[14:15]
	v_add_nc_u64_e32 v[0:1], v[4:5], v[8:9]
	s_cvt_f32_u32 s2, s20
	s_cvt_f32_u32 s15, s21
	s_sub_nc_u64 s[24:25], 0, s[20:21]
	v_dual_mov_b32 v7, v3 :: v_dual_mov_b32 v15, v3
	s_delay_alu instid0(SALU_CYCLE_1) | instskip(NEXT) | instid1(VALU_DEP_2)
	s_fmamk_f32 s2, s15, 0x4f800000, s2
	v_xor_b32_e32 v2, v0, v8
	v_xor_b32_e32 v6, v1, v8
	s_delay_alu instid0(SALU_CYCLE_1) | instskip(NEXT) | instid1(TRANS32_DEP_1)
	v_s_rcp_f32 s2, s2
	s_mul_f32 s2, s2, 0x5f7ffffc
	s_delay_alu instid0(SALU_CYCLE_3) | instskip(NEXT) | instid1(SALU_CYCLE_3)
	s_mul_f32 s15, s2, 0x2f800000
	s_trunc_f32 s15, s15
	s_delay_alu instid0(SALU_CYCLE_3) | instskip(SKIP_1) | instid1(SALU_CYCLE_2)
	s_fmamk_f32 s2, s15, 0xcf800000, s2
	s_cvt_u32_f32 s23, s15
	s_cvt_u32_f32 s22, s2
	s_delay_alu instid0(SALU_CYCLE_3) | instskip(NEXT) | instid1(SALU_CYCLE_1)
	s_mul_u64 s[26:27], s[24:25], s[22:23]
	s_mul_hi_u32 s31, s22, s27
	s_mul_i32 s30, s22, s27
	s_mul_hi_u32 s28, s22, s26
	s_mul_i32 s15, s23, s26
	s_add_nc_u64 s[30:31], s[28:29], s[30:31]
	s_mul_hi_u32 s2, s23, s26
	s_mul_hi_u32 s33, s23, s27
	s_add_co_u32 s15, s30, s15
	s_add_co_ci_u32 s28, s31, s2
	s_mul_i32 s26, s23, s27
	s_add_co_ci_u32 s27, s33, 0
	s_delay_alu instid0(SALU_CYCLE_1) | instskip(NEXT) | instid1(SALU_CYCLE_1)
	s_add_nc_u64 s[26:27], s[28:29], s[26:27]
	s_add_co_u32 s22, s22, s26
	s_cselect_b32 s2, -1, 0
	s_delay_alu instid0(SALU_CYCLE_1) | instskip(SKIP_1) | instid1(SALU_CYCLE_1)
	s_cmp_lg_u32 s2, 0
	s_add_co_ci_u32 s23, s23, s27
	s_mul_u64 s[24:25], s[24:25], s[22:23]
	s_delay_alu instid0(SALU_CYCLE_1)
	s_mul_hi_u32 s27, s22, s25
	s_mul_i32 s26, s22, s25
	s_mul_hi_u32 s28, s22, s24
	s_mul_i32 s15, s23, s24
	s_add_nc_u64 s[26:27], s[28:29], s[26:27]
	s_mul_hi_u32 s2, s23, s24
	s_mul_hi_u32 s30, s23, s25
	s_add_co_u32 s15, s26, s15
	s_add_co_ci_u32 s28, s27, s2
	s_mul_i32 s24, s23, s25
	s_add_co_ci_u32 s25, s30, 0
	s_delay_alu instid0(SALU_CYCLE_1) | instskip(NEXT) | instid1(SALU_CYCLE_1)
	s_add_nc_u64 s[24:25], s[28:29], s[24:25]
	s_add_co_u32 s2, s22, s24
	s_cselect_b32 s15, -1, 0
	v_nop
	v_mul_hi_u32 v14, v2, s2
	s_cmp_lg_u32 s15, 0
	s_add_co_ci_u32 s28, s23, s25
	s_mov_b64 s[22:23], 0xffffffff
	v_mul_u64_e32 v[10:11], s[28:29], v[2:3]
	s_and_b64 s[22:23], s[2:3], s[22:23]
	v_mul_u64_e32 v[12:13], s[28:29], v[6:7]
	v_mul_u64_e32 v[0:1], s[22:23], v[6:7]
	s_delay_alu instid0(VALU_DEP_3) | instskip(NEXT) | instid1(VALU_DEP_1)
	v_add_nc_u64_e32 v[10:11], v[14:15], v[10:11]
	v_add_co_u32 v0, vcc_lo, v10, v0
	s_delay_alu instid0(VALU_DEP_2) | instskip(SKIP_1) | instid1(VALU_DEP_1)
	v_add_co_ci_u32_e32 v14, vcc_lo, v11, v1, vcc_lo
	v_add_co_ci_u32_e32 v13, vcc_lo, 0, v13, vcc_lo
	v_add_nc_u64_e32 v[0:1], v[14:15], v[12:13]
	s_delay_alu instid0(VALU_DEP_1) | instskip(NEXT) | instid1(VALU_DEP_1)
	v_mul_u64_e32 v[10:11], s[20:21], v[0:1]
	v_sub_nc_u32_e32 v3, v6, v11
	s_delay_alu instid0(VALU_DEP_2) | instskip(NEXT) | instid1(VALU_DEP_1)
	v_sub_co_u32 v2, vcc_lo, v2, v10
	v_sub_co_ci_u32_e64 v9, null, v6, v11, vcc_lo
	s_delay_alu instid0(VALU_DEP_3) | instskip(NEXT) | instid1(VALU_DEP_3)
	v_subrev_co_ci_u32_e64 v3, null, s21, v3, vcc_lo
	v_sub_co_u32 v7, s2, v2, s20
	s_delay_alu instid0(VALU_DEP_1) | instskip(NEXT) | instid1(VALU_DEP_2)
	v_subrev_co_ci_u32_e64 v3, null, 0, v3, s2
	v_cmp_le_u32_e32 vcc_lo, s20, v7
	v_cndmask_b32_e64 v6, 0, -1, vcc_lo
	s_delay_alu instid0(VALU_DEP_3)
	v_cmp_le_u32_e32 vcc_lo, s21, v3
	v_cndmask_b32_e64 v7, 0, -1, vcc_lo
	v_cmp_le_u32_e32 vcc_lo, s20, v2
	v_cndmask_b32_e64 v10, 0, -1, vcc_lo
	;; [unrolled: 2-line block ×3, first 2 shown]
	v_cmp_eq_u32_e32 vcc_lo, s21, v3
	v_add_nc_u64_e32 v[2:3], 2, v[0:1]
	v_cndmask_b32_e32 v12, v7, v6, vcc_lo
	v_cmp_eq_u32_e32 vcc_lo, s21, v9
	v_add_nc_u64_e32 v[6:7], 1, v[0:1]
	v_cndmask_b32_e32 v9, v11, v10, vcc_lo
	s_delay_alu instid0(VALU_DEP_4) | instskip(NEXT) | instid1(VALU_DEP_3)
	v_cmp_ne_u32_e32 vcc_lo, 0, v12
	v_dual_cndmask_b32 v3, v7, v3 :: v_dual_cndmask_b32 v6, v6, v2
	v_xor_b32_e32 v2, s14, v8
	s_delay_alu instid0(VALU_DEP_4) | instskip(NEXT) | instid1(VALU_DEP_1)
	v_cmp_ne_u32_e64 s2, 0, v9
	v_dual_cndmask_b32 v1, v1, v3, s2 :: v_dual_cndmask_b32 v0, v0, v6, s2
	s_delay_alu instid0(VALU_DEP_1) | instskip(NEXT) | instid1(VALU_DEP_2)
	v_dual_mov_b32 v3, v2 :: v_dual_bitop2_b32 v1, v1, v2 bitop3:0x14
	v_xor_b32_e32 v0, v0, v2
	s_delay_alu instid0(VALU_DEP_1)
	v_sub_nc_u64_e32 v[0:1], v[0:1], v[2:3]
.LBB15_3:
	s_and_not1_saveexec_b32 s2, s3
	s_cbranch_execz .LBB15_5
; %bb.4:
	v_cvt_f32_u32_e32 v0, s12
	s_sub_co_i32 s3, 0, s12
	s_delay_alu instid0(VALU_DEP_1) | instskip(SKIP_1) | instid1(TRANS32_DEP_1)
	v_rcp_iflag_f32_e32 v0, v0
	v_nop
	v_mul_f32_e32 v0, 0x4f7ffffe, v0
	s_delay_alu instid0(VALU_DEP_1) | instskip(NEXT) | instid1(VALU_DEP_1)
	v_cvt_u32_f32_e32 v0, v0
	v_mul_lo_u32 v1, s3, v0
	s_delay_alu instid0(VALU_DEP_1) | instskip(NEXT) | instid1(VALU_DEP_1)
	v_mul_hi_u32 v1, v0, v1
	v_add_nc_u32_e32 v0, v0, v1
	s_delay_alu instid0(VALU_DEP_1) | instskip(NEXT) | instid1(VALU_DEP_1)
	v_mul_hi_u32 v0, v4, v0
	v_mul_lo_u32 v1, v0, s12
	s_delay_alu instid0(VALU_DEP_1) | instskip(NEXT) | instid1(VALU_DEP_1)
	v_dual_add_nc_u32 v2, 1, v0 :: v_dual_sub_nc_u32 v1, v4, v1
	v_subrev_nc_u32_e32 v3, s12, v1
	v_cmp_le_u32_e32 vcc_lo, s12, v1
	s_delay_alu instid0(VALU_DEP_2) | instskip(NEXT) | instid1(VALU_DEP_1)
	v_dual_cndmask_b32 v1, v1, v3 :: v_dual_cndmask_b32 v0, v0, v2
	v_cmp_le_u32_e32 vcc_lo, s12, v1
	s_delay_alu instid0(VALU_DEP_2) | instskip(NEXT) | instid1(VALU_DEP_1)
	v_dual_mov_b32 v1, 0 :: v_dual_add_nc_u32 v2, 1, v0
	v_cndmask_b32_e32 v0, v0, v2, vcc_lo
.LBB15_5:
	s_or_b32 exec_lo, exec_lo, s2
	s_delay_alu instid0(VALU_DEP_1) | instskip(SKIP_2) | instid1(VALU_DEP_2)
	v_mul_u64_e32 v[2:3], s[12:13], v[0:1]
	s_mov_b32 s2, exec_lo
	v_mov_b32_e32 v10, 0
	v_sub_nc_u64_e32 v[6:7], v[4:5], v[2:3]
                                        ; implicit-def: $vgpr2_vgpr3
	s_delay_alu instid0(VALU_DEP_1) | instskip(NEXT) | instid1(VALU_DEP_1)
	v_or_b32_e32 v11, s9, v7
	v_cmpx_ne_u64_e32 0, v[10:11]
	s_xor_b32 s3, exec_lo, s2
	s_cbranch_execz .LBB15_7
; %bb.6:
	s_ashr_i32 s12, s9, 31
	s_mov_b32 s27, 0
	s_mov_b32 s13, s12
	v_dual_mov_b32 v15, v10 :: v_dual_ashrrev_i32 v2, 31, v7
	s_add_nc_u64 s[14:15], s[8:9], s[12:13]
	v_dual_mov_b32 v23, v10 :: v_dual_mov_b32 v11, v10
	s_xor_b64 s[14:15], s[14:15], s[12:13]
	s_delay_alu instid0(VALU_DEP_2) | instskip(SKIP_3) | instid1(VALU_DEP_1)
	v_mov_b32_e32 v3, v2
	s_cvt_f32_u32 s2, s14
	s_cvt_f32_u32 s13, s15
	s_sub_nc_u64 s[22:23], 0, s[14:15]
	v_add_nc_u64_e32 v[12:13], v[6:7], v[2:3]
	s_delay_alu instid0(SALU_CYCLE_1) | instskip(SKIP_1) | instid1(SALU_CYCLE_2)
	s_fmamk_f32 s2, s13, 0x4f800000, s2
	v_mov_b32_e32 v17, v10
	v_s_rcp_f32 s2, s2
	s_delay_alu instid0(VALU_DEP_2) | instskip(NEXT) | instid1(VALU_DEP_3)
	v_xor_b32_e32 v14, v12, v2
	v_xor_b32_e32 v16, v13, v2
	;; [unrolled: 1-line block ×3, first 2 shown]
	s_delay_alu instid0(TRANS32_DEP_1) | instskip(NEXT) | instid1(SALU_CYCLE_3)
	s_mul_f32 s2, s2, 0x5f7ffffc
	s_mul_f32 s13, s2, 0x2f800000
	s_delay_alu instid0(SALU_CYCLE_3) | instskip(NEXT) | instid1(SALU_CYCLE_3)
	s_trunc_f32 s13, s13
	s_fmamk_f32 s2, s13, 0xcf800000, s2
	s_cvt_u32_f32 s21, s13
	s_delay_alu instid0(SALU_CYCLE_2) | instskip(NEXT) | instid1(SALU_CYCLE_3)
	s_cvt_u32_f32 s20, s2
	s_mul_u64 s[24:25], s[22:23], s[20:21]
	s_delay_alu instid0(SALU_CYCLE_1)
	s_mul_hi_u32 s29, s20, s25
	s_mul_i32 s28, s20, s25
	s_mul_hi_u32 s26, s20, s24
	s_mul_i32 s13, s21, s24
	s_add_nc_u64 s[28:29], s[26:27], s[28:29]
	s_mul_hi_u32 s2, s21, s24
	s_mul_hi_u32 s30, s21, s25
	s_add_co_u32 s13, s28, s13
	s_add_co_ci_u32 s26, s29, s2
	s_mul_i32 s24, s21, s25
	s_add_co_ci_u32 s25, s30, 0
	s_delay_alu instid0(SALU_CYCLE_1) | instskip(NEXT) | instid1(SALU_CYCLE_1)
	s_add_nc_u64 s[24:25], s[26:27], s[24:25]
	s_add_co_u32 s20, s20, s24
	s_cselect_b32 s2, -1, 0
	s_delay_alu instid0(SALU_CYCLE_1) | instskip(SKIP_1) | instid1(SALU_CYCLE_1)
	s_cmp_lg_u32 s2, 0
	s_add_co_ci_u32 s21, s21, s25
	s_mul_u64 s[22:23], s[22:23], s[20:21]
	s_delay_alu instid0(SALU_CYCLE_1)
	s_mul_hi_u32 s25, s20, s23
	s_mul_i32 s24, s20, s23
	s_mul_hi_u32 s26, s20, s22
	s_mul_i32 s13, s21, s22
	s_add_nc_u64 s[24:25], s[26:27], s[24:25]
	s_mul_hi_u32 s2, s21, s22
	s_mul_hi_u32 s28, s21, s23
	s_add_co_u32 s13, s24, s13
	s_add_co_ci_u32 s26, s25, s2
	s_mul_i32 s22, s21, s23
	s_add_co_ci_u32 s23, s28, 0
	s_delay_alu instid0(SALU_CYCLE_1) | instskip(NEXT) | instid1(SALU_CYCLE_1)
	s_add_nc_u64 s[22:23], s[26:27], s[22:23]
	s_add_co_u32 s2, s20, s22
	s_cselect_b32 s13, -1, 0
	v_mul_hi_u32 v22, v14, s2
	s_cmp_lg_u32 s13, 0
	s_add_co_ci_u32 s26, s21, s23
	s_mov_b64 s[20:21], 0xffffffff
	v_mul_u64_e32 v[18:19], s[26:27], v[14:15]
	s_and_b64 s[20:21], s[2:3], s[20:21]
	v_mul_u64_e32 v[20:21], s[26:27], v[16:17]
	v_mul_u64_e32 v[12:13], s[20:21], v[16:17]
	s_delay_alu instid0(VALU_DEP_3) | instskip(NEXT) | instid1(VALU_DEP_1)
	v_add_nc_u64_e32 v[18:19], v[22:23], v[18:19]
	v_add_co_u32 v3, vcc_lo, v18, v12
	s_delay_alu instid0(VALU_DEP_2) | instskip(SKIP_1) | instid1(VALU_DEP_1)
	v_add_co_ci_u32_e32 v10, vcc_lo, v19, v13, vcc_lo
	v_add_co_ci_u32_e32 v21, vcc_lo, 0, v21, vcc_lo
	v_add_nc_u64_e32 v[10:11], v[10:11], v[20:21]
	s_delay_alu instid0(VALU_DEP_1) | instskip(NEXT) | instid1(VALU_DEP_1)
	v_mul_u64_e32 v[12:13], s[14:15], v[10:11]
	v_sub_co_u32 v9, vcc_lo, v14, v12
	v_add_nc_u64_e32 v[14:15], 1, v[10:11]
	s_delay_alu instid0(VALU_DEP_3) | instskip(SKIP_1) | instid1(VALU_DEP_4)
	v_sub_nc_u32_e32 v3, v16, v13
	v_sub_co_ci_u32_e64 v16, null, v16, v13, vcc_lo
	v_sub_co_u32 v12, s2, v9, s14
	s_delay_alu instid0(VALU_DEP_3) | instskip(NEXT) | instid1(VALU_DEP_2)
	v_subrev_co_ci_u32_e64 v3, null, s15, v3, vcc_lo
	v_cmp_le_u32_e32 vcc_lo, s14, v12
	s_delay_alu instid0(VALU_DEP_2) | instskip(SKIP_1) | instid1(VALU_DEP_2)
	v_subrev_co_ci_u32_e64 v3, null, 0, v3, s2
	v_cndmask_b32_e64 v12, 0, -1, vcc_lo
	v_cmp_le_u32_e32 vcc_lo, s15, v3
	v_cndmask_b32_e64 v13, 0, -1, vcc_lo
	v_cmp_le_u32_e32 vcc_lo, s14, v9
	;; [unrolled: 2-line block ×3, first 2 shown]
	v_cndmask_b32_e64 v17, 0, -1, vcc_lo
	v_cmp_eq_u32_e32 vcc_lo, s15, v3
	v_cndmask_b32_e32 v3, v13, v12, vcc_lo
	v_cmp_eq_u32_e32 vcc_lo, s15, v16
	v_add_nc_u64_e32 v[12:13], 2, v[10:11]
	v_cndmask_b32_e32 v9, v17, v9, vcc_lo
	s_delay_alu instid0(VALU_DEP_4) | instskip(NEXT) | instid1(VALU_DEP_2)
	v_cmp_ne_u32_e32 vcc_lo, 0, v3
	v_cmp_ne_u32_e64 s2, 0, v9
	s_delay_alu instid0(VALU_DEP_4) | instskip(NEXT) | instid1(VALU_DEP_1)
	v_cndmask_b32_e32 v9, v14, v12, vcc_lo
	v_cndmask_b32_e64 v9, v10, v9, s2
	s_delay_alu instid0(VALU_DEP_1) | instskip(NEXT) | instid1(VALU_DEP_1)
	v_dual_cndmask_b32 v3, v15, v13, vcc_lo :: v_dual_bitop2_b32 v10, v9, v2 bitop3:0x14
	v_dual_cndmask_b32 v11, v11, v3, s2 :: v_dual_mov_b32 v3, v2
	s_delay_alu instid0(VALU_DEP_1) | instskip(NEXT) | instid1(VALU_DEP_1)
	v_xor_b32_e32 v11, v11, v2
	v_sub_nc_u64_e32 v[2:3], v[10:11], v[2:3]
.LBB15_7:
	s_and_not1_saveexec_b32 s2, s3
	s_cbranch_execz .LBB15_9
; %bb.8:
	v_cvt_f32_u32_e32 v2, s8
	s_sub_co_i32 s3, 0, s8
	s_delay_alu instid0(VALU_DEP_1) | instskip(SKIP_1) | instid1(TRANS32_DEP_1)
	v_rcp_iflag_f32_e32 v2, v2
	v_nop
	v_mul_f32_e32 v2, 0x4f7ffffe, v2
	s_delay_alu instid0(VALU_DEP_1) | instskip(NEXT) | instid1(VALU_DEP_1)
	v_cvt_u32_f32_e32 v2, v2
	v_mul_lo_u32 v3, s3, v2
	s_delay_alu instid0(VALU_DEP_1) | instskip(NEXT) | instid1(VALU_DEP_1)
	v_mul_hi_u32 v3, v2, v3
	v_add_nc_u32_e32 v2, v2, v3
	s_delay_alu instid0(VALU_DEP_1) | instskip(NEXT) | instid1(VALU_DEP_1)
	v_mul_hi_u32 v2, v6, v2
	v_mul_lo_u32 v3, v2, s8
	s_delay_alu instid0(VALU_DEP_1) | instskip(NEXT) | instid1(VALU_DEP_1)
	v_dual_add_nc_u32 v9, 1, v2 :: v_dual_sub_nc_u32 v3, v6, v3
	v_subrev_nc_u32_e32 v10, s8, v3
	v_cmp_le_u32_e32 vcc_lo, s8, v3
	s_delay_alu instid0(VALU_DEP_2) | instskip(NEXT) | instid1(VALU_DEP_1)
	v_dual_cndmask_b32 v3, v3, v10 :: v_dual_cndmask_b32 v2, v2, v9
	v_cmp_le_u32_e32 vcc_lo, s8, v3
	s_delay_alu instid0(VALU_DEP_2) | instskip(NEXT) | instid1(VALU_DEP_1)
	v_dual_add_nc_u32 v9, 1, v2 :: v_dual_mov_b32 v3, 0
	v_cndmask_b32_e32 v2, v2, v9, vcc_lo
.LBB15_9:
	s_or_b32 exec_lo, exec_lo, s2
	s_delay_alu instid0(VALU_DEP_1) | instskip(SKIP_2) | instid1(VALU_DEP_2)
	v_mul_u64_e32 v[10:11], s[8:9], v[2:3]
	s_mov_b32 s2, exec_lo
	v_mov_b32_e32 v12, 0
	v_sub_nc_u64_e32 v[6:7], v[6:7], v[10:11]
                                        ; implicit-def: $vgpr10_vgpr11
	s_delay_alu instid0(VALU_DEP_1) | instskip(NEXT) | instid1(VALU_DEP_1)
	v_or_b32_e32 v13, s11, v7
	v_cmpx_ne_u64_e32 0, v[12:13]
	s_xor_b32 s3, exec_lo, s2
	s_cbranch_execz .LBB15_11
; %bb.10:
	s_ashr_i32 s8, s11, 31
	s_mov_b32 s25, 0
	s_mov_b32 s9, s8
	v_dual_mov_b32 v17, v12 :: v_dual_ashrrev_i32 v10, 31, v7
	s_add_nc_u64 s[12:13], s[10:11], s[8:9]
	v_mov_b32_e32 v19, v12
	s_xor_b64 s[12:13], s[12:13], s[8:9]
	s_delay_alu instid0(VALU_DEP_2)
	v_mov_b32_e32 v11, v10
	s_cvt_f32_u32 s2, s12
	s_cvt_f32_u32 s9, s13
	s_sub_nc_u64 s[20:21], 0, s[12:13]
	v_mov_b32_e32 v25, v12
	v_add_nc_u64_e32 v[14:15], v[6:7], v[10:11]
	s_fmamk_f32 s2, s9, 0x4f800000, s2
	v_mov_b32_e32 v13, v12
	s_delay_alu instid0(SALU_CYCLE_2) | instskip(NEXT) | instid1(VALU_DEP_2)
	v_s_rcp_f32 s2, s2
	v_xor_b32_e32 v16, v14, v10
	s_delay_alu instid0(VALU_DEP_3) | instskip(SKIP_1) | instid1(TRANS32_DEP_1)
	v_xor_b32_e32 v18, v15, v10
	v_xor_b32_e32 v10, s8, v10
	s_mul_f32 s2, s2, 0x5f7ffffc
	s_delay_alu instid0(SALU_CYCLE_3) | instskip(NEXT) | instid1(SALU_CYCLE_3)
	s_mul_f32 s9, s2, 0x2f800000
	s_trunc_f32 s9, s9
	s_delay_alu instid0(SALU_CYCLE_3) | instskip(SKIP_1) | instid1(SALU_CYCLE_2)
	s_fmamk_f32 s2, s9, 0xcf800000, s2
	s_cvt_u32_f32 s15, s9
	s_cvt_u32_f32 s14, s2
	s_delay_alu instid0(SALU_CYCLE_3) | instskip(NEXT) | instid1(SALU_CYCLE_1)
	s_mul_u64 s[22:23], s[20:21], s[14:15]
	s_mul_hi_u32 s27, s14, s23
	s_mul_i32 s26, s14, s23
	s_mul_hi_u32 s24, s14, s22
	s_mul_i32 s9, s15, s22
	s_add_nc_u64 s[26:27], s[24:25], s[26:27]
	s_mul_hi_u32 s2, s15, s22
	s_mul_hi_u32 s28, s15, s23
	s_add_co_u32 s9, s26, s9
	s_add_co_ci_u32 s24, s27, s2
	s_mul_i32 s22, s15, s23
	s_add_co_ci_u32 s23, s28, 0
	s_delay_alu instid0(SALU_CYCLE_1) | instskip(NEXT) | instid1(SALU_CYCLE_1)
	s_add_nc_u64 s[22:23], s[24:25], s[22:23]
	s_add_co_u32 s14, s14, s22
	s_cselect_b32 s2, -1, 0
	s_delay_alu instid0(SALU_CYCLE_1) | instskip(SKIP_1) | instid1(SALU_CYCLE_1)
	s_cmp_lg_u32 s2, 0
	s_add_co_ci_u32 s15, s15, s23
	s_mul_u64 s[20:21], s[20:21], s[14:15]
	s_delay_alu instid0(SALU_CYCLE_1)
	s_mul_hi_u32 s23, s14, s21
	s_mul_i32 s22, s14, s21
	s_mul_hi_u32 s24, s14, s20
	s_mul_i32 s9, s15, s20
	s_add_nc_u64 s[22:23], s[24:25], s[22:23]
	s_mul_hi_u32 s2, s15, s20
	s_mul_hi_u32 s26, s15, s21
	s_add_co_u32 s9, s22, s9
	s_add_co_ci_u32 s24, s23, s2
	s_mul_i32 s20, s15, s21
	s_add_co_ci_u32 s21, s26, 0
	s_delay_alu instid0(SALU_CYCLE_1) | instskip(NEXT) | instid1(SALU_CYCLE_1)
	s_add_nc_u64 s[20:21], s[24:25], s[20:21]
	s_add_co_u32 s2, s14, s20
	s_cselect_b32 s9, -1, 0
	v_mul_hi_u32 v24, v16, s2
	s_cmp_lg_u32 s9, 0
	s_add_co_ci_u32 s24, s15, s21
	s_mov_b64 s[14:15], 0xffffffff
	v_mul_u64_e32 v[20:21], s[24:25], v[16:17]
	s_and_b64 s[14:15], s[2:3], s[14:15]
	v_mul_u64_e32 v[22:23], s[24:25], v[18:19]
	v_mul_u64_e32 v[14:15], s[14:15], v[18:19]
	s_delay_alu instid0(VALU_DEP_3) | instskip(NEXT) | instid1(VALU_DEP_1)
	v_add_nc_u64_e32 v[20:21], v[24:25], v[20:21]
	v_add_co_u32 v9, vcc_lo, v20, v14
	s_delay_alu instid0(VALU_DEP_2) | instskip(SKIP_1) | instid1(VALU_DEP_1)
	v_add_co_ci_u32_e32 v12, vcc_lo, v21, v15, vcc_lo
	v_add_co_ci_u32_e32 v23, vcc_lo, 0, v23, vcc_lo
	v_add_nc_u64_e32 v[12:13], v[12:13], v[22:23]
	s_delay_alu instid0(VALU_DEP_1) | instskip(NEXT) | instid1(VALU_DEP_1)
	v_mul_u64_e32 v[14:15], s[12:13], v[12:13]
	v_sub_co_u32 v11, vcc_lo, v16, v14
	v_add_nc_u64_e32 v[16:17], 1, v[12:13]
	s_delay_alu instid0(VALU_DEP_3) | instskip(SKIP_1) | instid1(VALU_DEP_4)
	v_sub_nc_u32_e32 v9, v18, v15
	v_sub_co_ci_u32_e64 v18, null, v18, v15, vcc_lo
	v_sub_co_u32 v14, s2, v11, s12
	s_delay_alu instid0(VALU_DEP_3) | instskip(NEXT) | instid1(VALU_DEP_2)
	v_subrev_co_ci_u32_e64 v9, null, s13, v9, vcc_lo
	v_cmp_le_u32_e32 vcc_lo, s12, v14
	s_delay_alu instid0(VALU_DEP_2) | instskip(SKIP_1) | instid1(VALU_DEP_2)
	v_subrev_co_ci_u32_e64 v9, null, 0, v9, s2
	v_cndmask_b32_e64 v14, 0, -1, vcc_lo
	v_cmp_le_u32_e32 vcc_lo, s13, v9
	v_cndmask_b32_e64 v15, 0, -1, vcc_lo
	v_cmp_le_u32_e32 vcc_lo, s12, v11
	;; [unrolled: 2-line block ×3, first 2 shown]
	v_cndmask_b32_e64 v19, 0, -1, vcc_lo
	v_cmp_eq_u32_e32 vcc_lo, s13, v9
	v_cndmask_b32_e32 v9, v15, v14, vcc_lo
	v_cmp_eq_u32_e32 vcc_lo, s13, v18
	v_add_nc_u64_e32 v[14:15], 2, v[12:13]
	v_cndmask_b32_e32 v11, v19, v11, vcc_lo
	s_delay_alu instid0(VALU_DEP_4) | instskip(NEXT) | instid1(VALU_DEP_2)
	v_cmp_ne_u32_e32 vcc_lo, 0, v9
	v_cmp_ne_u32_e64 s2, 0, v11
	s_delay_alu instid0(VALU_DEP_4) | instskip(NEXT) | instid1(VALU_DEP_1)
	v_dual_cndmask_b32 v9, v17, v15, vcc_lo :: v_dual_cndmask_b32 v11, v16, v14, vcc_lo
	v_dual_cndmask_b32 v12, v12, v11, s2 :: v_dual_mov_b32 v11, v10
	s_delay_alu instid0(VALU_DEP_1) | instskip(NEXT) | instid1(VALU_DEP_1)
	v_dual_cndmask_b32 v9, v13, v9, s2 :: v_dual_bitop2_b32 v12, v12, v10 bitop3:0x14
	v_xor_b32_e32 v13, v9, v10
	s_delay_alu instid0(VALU_DEP_1)
	v_sub_nc_u64_e32 v[10:11], v[12:13], v[10:11]
.LBB15_11:
	s_and_not1_saveexec_b32 s2, s3
	s_cbranch_execz .LBB15_13
; %bb.12:
	v_cvt_f32_u32_e32 v9, s10
	s_sub_co_i32 s3, 0, s10
	s_delay_alu instid0(VALU_DEP_1) | instskip(SKIP_1) | instid1(TRANS32_DEP_1)
	v_rcp_iflag_f32_e32 v9, v9
	v_nop
	v_mul_f32_e32 v9, 0x4f7ffffe, v9
	s_delay_alu instid0(VALU_DEP_1) | instskip(NEXT) | instid1(VALU_DEP_1)
	v_cvt_u32_f32_e32 v9, v9
	v_mul_lo_u32 v10, s3, v9
	s_delay_alu instid0(VALU_DEP_1) | instskip(NEXT) | instid1(VALU_DEP_1)
	v_mul_hi_u32 v10, v9, v10
	v_add_nc_u32_e32 v9, v9, v10
	s_delay_alu instid0(VALU_DEP_1) | instskip(NEXT) | instid1(VALU_DEP_1)
	v_mul_hi_u32 v9, v6, v9
	v_mul_lo_u32 v10, v9, s10
	s_delay_alu instid0(VALU_DEP_1) | instskip(NEXT) | instid1(VALU_DEP_1)
	v_dual_add_nc_u32 v11, 1, v9 :: v_dual_sub_nc_u32 v10, v6, v10
	v_subrev_nc_u32_e32 v12, s10, v10
	v_cmp_le_u32_e32 vcc_lo, s10, v10
	s_delay_alu instid0(VALU_DEP_2) | instskip(NEXT) | instid1(VALU_DEP_1)
	v_dual_cndmask_b32 v10, v10, v12 :: v_dual_cndmask_b32 v9, v9, v11
	v_cmp_le_u32_e32 vcc_lo, s10, v10
	s_delay_alu instid0(VALU_DEP_2) | instskip(NEXT) | instid1(VALU_DEP_1)
	v_add_nc_u32_e32 v11, 1, v9
	v_dual_cndmask_b32 v10, v9, v11 :: v_dual_mov_b32 v11, 0
.LBB15_13:
	s_or_b32 exec_lo, exec_lo, s2
	s_load_b512 s[36:51], s[0:1], 0x40
                                        ; implicit-def: $vgpr12_vgpr13
	s_mov_b32 s2, exec_lo
	v_mov_b32_e32 v14, 0
	s_wait_kmcnt 0x0
	s_mul_u64 s[8:9], s[42:43], s[40:41]
	s_delay_alu instid0(SALU_CYCLE_1) | instskip(NEXT) | instid1(SALU_CYCLE_1)
	s_mul_u64 s[12:13], s[8:9], s[44:45]
	v_or_b32_e32 v15, s13, v5
	s_delay_alu instid0(VALU_DEP_1)
	v_cmpx_ne_u64_e32 0, v[14:15]
	s_xor_b32 s3, exec_lo, s2
	s_cbranch_execz .LBB15_15
; %bb.14:
	s_ashr_i32 s14, s13, 31
	s_mov_b32 s29, 0
	s_mov_b32 s15, s14
	v_dual_mov_b32 v9, v8 :: v_dual_mov_b32 v17, v14
	s_add_nc_u64 s[20:21], s[12:13], s[14:15]
	v_mov_b32_e32 v15, v14
	s_xor_b64 s[20:21], s[20:21], s[14:15]
	s_delay_alu instid0(VALU_DEP_2) | instskip(SKIP_4) | instid1(SALU_CYCLE_1)
	v_add_nc_u64_e32 v[12:13], v[4:5], v[8:9]
	s_cvt_f32_u32 s2, s20
	s_cvt_f32_u32 s15, s21
	s_sub_nc_u64 s[24:25], 0, s[20:21]
	v_dual_mov_b32 v19, v14 :: v_dual_mov_b32 v25, v14
	s_fmamk_f32 s2, s15, 0x4f800000, s2
	s_delay_alu instid0(VALU_DEP_2) | instskip(SKIP_3) | instid1(TRANS32_DEP_1)
	v_xor_b32_e32 v16, v12, v8
	v_xor_b32_e32 v18, v13, v8
	;; [unrolled: 1-line block ×3, first 2 shown]
	v_s_rcp_f32 s2, s2
	s_mul_f32 s2, s2, 0x5f7ffffc
	s_delay_alu instid0(SALU_CYCLE_3) | instskip(NEXT) | instid1(SALU_CYCLE_3)
	s_mul_f32 s15, s2, 0x2f800000
	s_trunc_f32 s15, s15
	s_delay_alu instid0(SALU_CYCLE_3) | instskip(SKIP_1) | instid1(SALU_CYCLE_2)
	s_fmamk_f32 s2, s15, 0xcf800000, s2
	s_cvt_u32_f32 s23, s15
	s_cvt_u32_f32 s22, s2
	s_delay_alu instid0(SALU_CYCLE_3) | instskip(NEXT) | instid1(SALU_CYCLE_1)
	s_mul_u64 s[26:27], s[24:25], s[22:23]
	s_mul_hi_u32 s31, s22, s27
	s_mul_i32 s30, s22, s27
	s_mul_hi_u32 s28, s22, s26
	s_mul_i32 s15, s23, s26
	s_add_nc_u64 s[30:31], s[28:29], s[30:31]
	s_mul_hi_u32 s2, s23, s26
	s_mul_hi_u32 s33, s23, s27
	s_add_co_u32 s15, s30, s15
	s_add_co_ci_u32 s28, s31, s2
	s_mul_i32 s26, s23, s27
	s_add_co_ci_u32 s27, s33, 0
	s_delay_alu instid0(SALU_CYCLE_1) | instskip(NEXT) | instid1(SALU_CYCLE_1)
	s_add_nc_u64 s[26:27], s[28:29], s[26:27]
	s_add_co_u32 s22, s22, s26
	s_cselect_b32 s2, -1, 0
	s_delay_alu instid0(SALU_CYCLE_1) | instskip(SKIP_1) | instid1(SALU_CYCLE_1)
	s_cmp_lg_u32 s2, 0
	s_add_co_ci_u32 s23, s23, s27
	s_mul_u64 s[24:25], s[24:25], s[22:23]
	s_delay_alu instid0(SALU_CYCLE_1)
	s_mul_hi_u32 s27, s22, s25
	s_mul_i32 s26, s22, s25
	s_mul_hi_u32 s28, s22, s24
	s_mul_i32 s15, s23, s24
	s_add_nc_u64 s[26:27], s[28:29], s[26:27]
	s_mul_hi_u32 s2, s23, s24
	s_mul_hi_u32 s30, s23, s25
	s_add_co_u32 s15, s26, s15
	s_add_co_ci_u32 s28, s27, s2
	s_mul_i32 s24, s23, s25
	s_add_co_ci_u32 s25, s30, 0
	s_delay_alu instid0(SALU_CYCLE_1) | instskip(NEXT) | instid1(SALU_CYCLE_1)
	s_add_nc_u64 s[24:25], s[28:29], s[24:25]
	s_add_co_u32 s2, s22, s24
	s_cselect_b32 s15, -1, 0
	v_nop
	v_mul_hi_u32 v24, v16, s2
	s_cmp_lg_u32 s15, 0
	s_add_co_ci_u32 s28, s23, s25
	s_mov_b64 s[22:23], 0xffffffff
	v_mul_u64_e32 v[20:21], s[28:29], v[16:17]
	s_and_b64 s[22:23], s[2:3], s[22:23]
	v_mul_u64_e32 v[22:23], s[28:29], v[18:19]
	v_mul_u64_e32 v[12:13], s[22:23], v[18:19]
	s_delay_alu instid0(VALU_DEP_3) | instskip(NEXT) | instid1(VALU_DEP_1)
	v_add_nc_u64_e32 v[20:21], v[24:25], v[20:21]
	v_add_co_u32 v9, vcc_lo, v20, v12
	s_delay_alu instid0(VALU_DEP_2) | instskip(SKIP_1) | instid1(VALU_DEP_1)
	v_add_co_ci_u32_e32 v14, vcc_lo, v21, v13, vcc_lo
	v_add_co_ci_u32_e32 v23, vcc_lo, 0, v23, vcc_lo
	v_add_nc_u64_e32 v[12:13], v[14:15], v[22:23]
	s_delay_alu instid0(VALU_DEP_1) | instskip(NEXT) | instid1(VALU_DEP_1)
	v_mul_u64_e32 v[14:15], s[20:21], v[12:13]
	v_sub_nc_u32_e32 v9, v18, v15
	s_delay_alu instid0(VALU_DEP_2) | instskip(NEXT) | instid1(VALU_DEP_1)
	v_sub_co_u32 v14, vcc_lo, v16, v14
	v_sub_co_ci_u32_e64 v18, null, v18, v15, vcc_lo
	s_delay_alu instid0(VALU_DEP_3) | instskip(NEXT) | instid1(VALU_DEP_3)
	v_subrev_co_ci_u32_e64 v9, null, s21, v9, vcc_lo
	v_sub_co_u32 v16, s2, v14, s20
	s_delay_alu instid0(VALU_DEP_1) | instskip(NEXT) | instid1(VALU_DEP_2)
	v_subrev_co_ci_u32_e64 v9, null, 0, v9, s2
	v_cmp_le_u32_e32 vcc_lo, s20, v16
	v_cndmask_b32_e64 v15, 0, -1, vcc_lo
	s_delay_alu instid0(VALU_DEP_3)
	v_cmp_le_u32_e32 vcc_lo, s21, v9
	v_cndmask_b32_e64 v16, 0, -1, vcc_lo
	v_cmp_le_u32_e32 vcc_lo, s20, v14
	v_cndmask_b32_e64 v19, 0, -1, vcc_lo
	;; [unrolled: 2-line block ×3, first 2 shown]
	v_cmp_eq_u32_e32 vcc_lo, s21, v9
	v_cndmask_b32_e32 v9, v16, v15, vcc_lo
	v_cmp_eq_u32_e32 vcc_lo, s21, v18
	v_add_nc_u64_e32 v[14:15], 2, v[12:13]
	v_add_nc_u64_e32 v[16:17], 1, v[12:13]
	v_cndmask_b32_e32 v18, v20, v19, vcc_lo
	v_cmp_ne_u32_e32 vcc_lo, 0, v9
	s_delay_alu instid0(VALU_DEP_2) | instskip(NEXT) | instid1(VALU_DEP_4)
	v_cmp_ne_u32_e64 s2, 0, v18
	v_dual_cndmask_b32 v14, v16, v14 :: v_dual_cndmask_b32 v9, v17, v15
	s_delay_alu instid0(VALU_DEP_1) | instskip(SKIP_1) | instid1(VALU_DEP_2)
	v_dual_cndmask_b32 v12, v12, v14, s2 :: v_dual_cndmask_b32 v13, v13, v9, s2
	v_mov_b32_e32 v9, v8
	v_xor_b32_e32 v12, v12, v8
	s_delay_alu instid0(VALU_DEP_3) | instskip(NEXT) | instid1(VALU_DEP_1)
	v_xor_b32_e32 v13, v13, v8
	v_sub_nc_u64_e32 v[12:13], v[12:13], v[8:9]
.LBB15_15:
	s_and_not1_saveexec_b32 s2, s3
	s_cbranch_execz .LBB15_17
; %bb.16:
	v_cvt_f32_u32_e32 v8, s12
	s_sub_co_i32 s3, 0, s12
	s_delay_alu instid0(VALU_DEP_1) | instskip(SKIP_1) | instid1(TRANS32_DEP_1)
	v_rcp_iflag_f32_e32 v8, v8
	v_nop
	v_mul_f32_e32 v8, 0x4f7ffffe, v8
	s_delay_alu instid0(VALU_DEP_1) | instskip(NEXT) | instid1(VALU_DEP_1)
	v_cvt_u32_f32_e32 v8, v8
	v_mul_lo_u32 v9, s3, v8
	s_delay_alu instid0(VALU_DEP_1) | instskip(NEXT) | instid1(VALU_DEP_1)
	v_mul_hi_u32 v9, v8, v9
	v_add_nc_u32_e32 v8, v8, v9
	s_delay_alu instid0(VALU_DEP_1) | instskip(NEXT) | instid1(VALU_DEP_1)
	v_mul_hi_u32 v8, v4, v8
	v_mul_lo_u32 v9, v8, s12
	s_delay_alu instid0(VALU_DEP_1) | instskip(NEXT) | instid1(VALU_DEP_1)
	v_sub_nc_u32_e32 v9, v4, v9
	v_subrev_nc_u32_e32 v13, s12, v9
	v_cmp_le_u32_e32 vcc_lo, s12, v9
	s_delay_alu instid0(VALU_DEP_2) | instskip(NEXT) | instid1(VALU_DEP_1)
	v_dual_cndmask_b32 v9, v9, v13 :: v_dual_add_nc_u32 v12, 1, v8
	v_dual_cndmask_b32 v8, v8, v12 :: v_dual_mov_b32 v13, 0
	s_delay_alu instid0(VALU_DEP_2) | instskip(NEXT) | instid1(VALU_DEP_2)
	v_cmp_le_u32_e32 vcc_lo, s12, v9
	v_add_nc_u32_e32 v12, 1, v8
	s_delay_alu instid0(VALU_DEP_1)
	v_cndmask_b32_e32 v12, v8, v12, vcc_lo
.LBB15_17:
	s_or_b32 exec_lo, exec_lo, s2
	s_delay_alu instid0(VALU_DEP_1) | instskip(SKIP_2) | instid1(VALU_DEP_2)
	v_mul_u64_e32 v[8:9], s[12:13], v[12:13]
	s_mov_b32 s2, exec_lo
	v_mov_b32_e32 v14, 0
	v_sub_nc_u64_e32 v[8:9], v[4:5], v[8:9]
                                        ; implicit-def: $vgpr4_vgpr5
	s_delay_alu instid0(VALU_DEP_1) | instskip(NEXT) | instid1(VALU_DEP_1)
	v_or_b32_e32 v15, s9, v9
	v_cmpx_ne_u64_e32 0, v[14:15]
	s_xor_b32 s3, exec_lo, s2
	s_cbranch_execz .LBB15_19
; %bb.18:
	s_ashr_i32 s12, s9, 31
	s_mov_b32 s27, 0
	s_mov_b32 s13, s12
	v_dual_mov_b32 v19, v14 :: v_dual_ashrrev_i32 v4, 31, v9
	s_add_nc_u64 s[14:15], s[8:9], s[12:13]
	v_mov_b32_e32 v21, v14
	s_xor_b64 s[14:15], s[14:15], s[12:13]
	s_delay_alu instid0(VALU_DEP_2)
	v_mov_b32_e32 v5, v4
	s_cvt_f32_u32 s2, s14
	s_cvt_f32_u32 s13, s15
	s_sub_nc_u64 s[22:23], 0, s[14:15]
	v_mov_b32_e32 v27, v14
	v_add_nc_u64_e32 v[16:17], v[8:9], v[4:5]
	s_fmamk_f32 s2, s13, 0x4f800000, s2
	v_mov_b32_e32 v15, v14
	s_delay_alu instid0(SALU_CYCLE_2) | instskip(NEXT) | instid1(VALU_DEP_2)
	v_s_rcp_f32 s2, s2
	v_xor_b32_e32 v18, v16, v4
	s_delay_alu instid0(VALU_DEP_3) | instskip(SKIP_1) | instid1(TRANS32_DEP_1)
	v_xor_b32_e32 v20, v17, v4
	v_xor_b32_e32 v4, s12, v4
	s_mul_f32 s2, s2, 0x5f7ffffc
	s_delay_alu instid0(SALU_CYCLE_3) | instskip(NEXT) | instid1(SALU_CYCLE_3)
	s_mul_f32 s13, s2, 0x2f800000
	s_trunc_f32 s13, s13
	s_delay_alu instid0(SALU_CYCLE_3) | instskip(SKIP_1) | instid1(SALU_CYCLE_2)
	s_fmamk_f32 s2, s13, 0xcf800000, s2
	s_cvt_u32_f32 s21, s13
	s_cvt_u32_f32 s20, s2
	s_delay_alu instid0(SALU_CYCLE_3) | instskip(NEXT) | instid1(SALU_CYCLE_1)
	s_mul_u64 s[24:25], s[22:23], s[20:21]
	s_mul_hi_u32 s29, s20, s25
	s_mul_i32 s28, s20, s25
	s_mul_hi_u32 s26, s20, s24
	s_mul_i32 s13, s21, s24
	s_add_nc_u64 s[28:29], s[26:27], s[28:29]
	s_mul_hi_u32 s2, s21, s24
	s_mul_hi_u32 s30, s21, s25
	s_add_co_u32 s13, s28, s13
	s_add_co_ci_u32 s26, s29, s2
	s_mul_i32 s24, s21, s25
	s_add_co_ci_u32 s25, s30, 0
	s_delay_alu instid0(SALU_CYCLE_1) | instskip(NEXT) | instid1(SALU_CYCLE_1)
	s_add_nc_u64 s[24:25], s[26:27], s[24:25]
	s_add_co_u32 s20, s20, s24
	s_cselect_b32 s2, -1, 0
	s_delay_alu instid0(SALU_CYCLE_1) | instskip(SKIP_1) | instid1(SALU_CYCLE_1)
	s_cmp_lg_u32 s2, 0
	s_add_co_ci_u32 s21, s21, s25
	s_mul_u64 s[22:23], s[22:23], s[20:21]
	s_delay_alu instid0(SALU_CYCLE_1)
	s_mul_hi_u32 s25, s20, s23
	s_mul_i32 s24, s20, s23
	s_mul_hi_u32 s26, s20, s22
	s_mul_i32 s13, s21, s22
	s_add_nc_u64 s[24:25], s[26:27], s[24:25]
	s_mul_hi_u32 s2, s21, s22
	s_mul_hi_u32 s28, s21, s23
	s_add_co_u32 s13, s24, s13
	s_add_co_ci_u32 s26, s25, s2
	s_mul_i32 s22, s21, s23
	s_add_co_ci_u32 s23, s28, 0
	s_delay_alu instid0(SALU_CYCLE_1) | instskip(NEXT) | instid1(SALU_CYCLE_1)
	s_add_nc_u64 s[22:23], s[26:27], s[22:23]
	s_add_co_u32 s2, s20, s22
	s_cselect_b32 s13, -1, 0
	v_mul_hi_u32 v26, v18, s2
	s_cmp_lg_u32 s13, 0
	s_add_co_ci_u32 s26, s21, s23
	s_mov_b64 s[20:21], 0xffffffff
	v_mul_u64_e32 v[22:23], s[26:27], v[18:19]
	s_and_b64 s[20:21], s[2:3], s[20:21]
	v_mul_u64_e32 v[24:25], s[26:27], v[20:21]
	v_mul_u64_e32 v[16:17], s[20:21], v[20:21]
	s_delay_alu instid0(VALU_DEP_3) | instskip(NEXT) | instid1(VALU_DEP_1)
	v_add_nc_u64_e32 v[22:23], v[26:27], v[22:23]
	v_add_co_u32 v5, vcc_lo, v22, v16
	s_delay_alu instid0(VALU_DEP_2) | instskip(SKIP_1) | instid1(VALU_DEP_1)
	v_add_co_ci_u32_e32 v14, vcc_lo, v23, v17, vcc_lo
	v_add_co_ci_u32_e32 v25, vcc_lo, 0, v25, vcc_lo
	v_add_nc_u64_e32 v[14:15], v[14:15], v[24:25]
	s_delay_alu instid0(VALU_DEP_1) | instskip(NEXT) | instid1(VALU_DEP_1)
	v_mul_u64_e32 v[16:17], s[14:15], v[14:15]
	v_sub_nc_u32_e32 v5, v20, v17
	s_delay_alu instid0(VALU_DEP_2) | instskip(NEXT) | instid1(VALU_DEP_1)
	v_sub_co_u32 v16, vcc_lo, v18, v16
	v_sub_co_ci_u32_e64 v20, null, v20, v17, vcc_lo
	s_delay_alu instid0(VALU_DEP_3) | instskip(NEXT) | instid1(VALU_DEP_3)
	v_subrev_co_ci_u32_e64 v5, null, s15, v5, vcc_lo
	v_sub_co_u32 v18, s2, v16, s14
	s_delay_alu instid0(VALU_DEP_1) | instskip(NEXT) | instid1(VALU_DEP_2)
	v_subrev_co_ci_u32_e64 v5, null, 0, v5, s2
	v_cmp_le_u32_e32 vcc_lo, s14, v18
	v_cndmask_b32_e64 v17, 0, -1, vcc_lo
	s_delay_alu instid0(VALU_DEP_3)
	v_cmp_le_u32_e32 vcc_lo, s15, v5
	v_cndmask_b32_e64 v18, 0, -1, vcc_lo
	v_cmp_le_u32_e32 vcc_lo, s14, v16
	v_cndmask_b32_e64 v21, 0, -1, vcc_lo
	;; [unrolled: 2-line block ×3, first 2 shown]
	v_cmp_eq_u32_e32 vcc_lo, s15, v5
	v_cndmask_b32_e32 v5, v18, v17, vcc_lo
	v_cmp_eq_u32_e32 vcc_lo, s15, v20
	v_add_nc_u64_e32 v[16:17], 2, v[14:15]
	v_add_nc_u64_e32 v[18:19], 1, v[14:15]
	v_cndmask_b32_e32 v20, v22, v21, vcc_lo
	v_cmp_ne_u32_e32 vcc_lo, 0, v5
	s_delay_alu instid0(VALU_DEP_2) | instskip(NEXT) | instid1(VALU_DEP_4)
	v_cmp_ne_u32_e64 s2, 0, v20
	v_dual_cndmask_b32 v16, v18, v16 :: v_dual_cndmask_b32 v5, v19, v17
	s_delay_alu instid0(VALU_DEP_1) | instskip(NEXT) | instid1(VALU_DEP_1)
	v_dual_cndmask_b32 v14, v14, v16, s2 :: v_dual_cndmask_b32 v15, v15, v5, s2
	v_dual_mov_b32 v5, v4 :: v_dual_bitop2_b32 v14, v14, v4 bitop3:0x14
	s_delay_alu instid0(VALU_DEP_2) | instskip(NEXT) | instid1(VALU_DEP_1)
	v_xor_b32_e32 v15, v15, v4
	v_sub_nc_u64_e32 v[4:5], v[14:15], v[4:5]
.LBB15_19:
	s_and_not1_saveexec_b32 s2, s3
	s_cbranch_execz .LBB15_21
; %bb.20:
	v_cvt_f32_u32_e32 v4, s8
	s_sub_co_i32 s3, 0, s8
	s_delay_alu instid0(VALU_DEP_1) | instskip(SKIP_1) | instid1(TRANS32_DEP_1)
	v_rcp_iflag_f32_e32 v4, v4
	v_nop
	v_mul_f32_e32 v4, 0x4f7ffffe, v4
	s_delay_alu instid0(VALU_DEP_1) | instskip(NEXT) | instid1(VALU_DEP_1)
	v_cvt_u32_f32_e32 v4, v4
	v_mul_lo_u32 v5, s3, v4
	s_delay_alu instid0(VALU_DEP_1) | instskip(NEXT) | instid1(VALU_DEP_1)
	v_mul_hi_u32 v5, v4, v5
	v_add_nc_u32_e32 v4, v4, v5
	s_delay_alu instid0(VALU_DEP_1) | instskip(NEXT) | instid1(VALU_DEP_1)
	v_mul_hi_u32 v4, v8, v4
	v_mul_lo_u32 v5, v4, s8
	s_delay_alu instid0(VALU_DEP_1) | instskip(NEXT) | instid1(VALU_DEP_1)
	v_dual_add_nc_u32 v14, 1, v4 :: v_dual_sub_nc_u32 v5, v8, v5
	v_subrev_nc_u32_e32 v15, s8, v5
	v_cmp_le_u32_e32 vcc_lo, s8, v5
	s_delay_alu instid0(VALU_DEP_2) | instskip(NEXT) | instid1(VALU_DEP_1)
	v_dual_cndmask_b32 v5, v5, v15 :: v_dual_cndmask_b32 v4, v4, v14
	v_cmp_le_u32_e32 vcc_lo, s8, v5
	s_delay_alu instid0(VALU_DEP_2) | instskip(NEXT) | instid1(VALU_DEP_1)
	v_dual_mov_b32 v5, 0 :: v_dual_add_nc_u32 v14, 1, v4
	v_cndmask_b32_e32 v4, v4, v14, vcc_lo
.LBB15_21:
	s_or_b32 exec_lo, exec_lo, s2
	s_delay_alu instid0(VALU_DEP_1) | instskip(SKIP_1) | instid1(VALU_DEP_1)
	v_mul_u64_e32 v[14:15], s[8:9], v[4:5]
                                        ; implicit-def: $vgpr16_vgpr17
	s_mov_b32 s2, exec_lo
	v_sub_nc_u64_e32 v[8:9], v[8:9], v[14:15]
	s_delay_alu instid0(VALU_DEP_1) | instskip(NEXT) | instid1(VALU_DEP_1)
	v_dual_mov_b32 v14, 0 :: v_dual_bitop2_b32 v15, s41, v9 bitop3:0x54
	v_cmpx_ne_u64_e32 0, v[14:15]
	s_xor_b32 s3, exec_lo, s2
	s_cbranch_execz .LBB15_23
; %bb.22:
	s_ashr_i32 s8, s41, 31
	s_mov_b32 s25, 0
	s_mov_b32 s9, s8
	v_dual_mov_b32 v21, v14 :: v_dual_ashrrev_i32 v16, 31, v9
	s_add_nc_u64 s[12:13], s[40:41], s[8:9]
	v_dual_mov_b32 v29, v14 :: v_dual_mov_b32 v15, v14
	s_xor_b64 s[12:13], s[12:13], s[8:9]
	s_delay_alu instid0(VALU_DEP_2) | instskip(SKIP_3) | instid1(VALU_DEP_1)
	v_mov_b32_e32 v17, v16
	s_cvt_f32_u32 s2, s12
	s_cvt_f32_u32 s9, s13
	s_sub_nc_u64 s[20:21], 0, s[12:13]
	v_add_nc_u64_e32 v[18:19], v[8:9], v[16:17]
	s_delay_alu instid0(SALU_CYCLE_1) | instskip(SKIP_1) | instid1(SALU_CYCLE_2)
	s_fmamk_f32 s2, s9, 0x4f800000, s2
	v_mov_b32_e32 v23, v14
	v_s_rcp_f32 s2, s2
	s_delay_alu instid0(VALU_DEP_2) | instskip(NEXT) | instid1(VALU_DEP_3)
	v_xor_b32_e32 v20, v18, v16
	v_xor_b32_e32 v22, v19, v16
	v_xor_b32_e32 v16, s8, v16
	s_delay_alu instid0(TRANS32_DEP_1) | instskip(NEXT) | instid1(SALU_CYCLE_3)
	s_mul_f32 s2, s2, 0x5f7ffffc
	s_mul_f32 s9, s2, 0x2f800000
	s_delay_alu instid0(SALU_CYCLE_3) | instskip(NEXT) | instid1(SALU_CYCLE_3)
	s_trunc_f32 s9, s9
	s_fmamk_f32 s2, s9, 0xcf800000, s2
	s_cvt_u32_f32 s15, s9
	s_delay_alu instid0(SALU_CYCLE_2) | instskip(NEXT) | instid1(SALU_CYCLE_3)
	s_cvt_u32_f32 s14, s2
	s_mul_u64 s[22:23], s[20:21], s[14:15]
	s_delay_alu instid0(SALU_CYCLE_1)
	s_mul_hi_u32 s27, s14, s23
	s_mul_i32 s26, s14, s23
	s_mul_hi_u32 s24, s14, s22
	s_mul_i32 s9, s15, s22
	s_add_nc_u64 s[26:27], s[24:25], s[26:27]
	s_mul_hi_u32 s2, s15, s22
	s_mul_hi_u32 s28, s15, s23
	s_add_co_u32 s9, s26, s9
	s_add_co_ci_u32 s24, s27, s2
	s_mul_i32 s22, s15, s23
	s_add_co_ci_u32 s23, s28, 0
	s_delay_alu instid0(SALU_CYCLE_1) | instskip(NEXT) | instid1(SALU_CYCLE_1)
	s_add_nc_u64 s[22:23], s[24:25], s[22:23]
	s_add_co_u32 s14, s14, s22
	s_cselect_b32 s2, -1, 0
	s_delay_alu instid0(SALU_CYCLE_1) | instskip(SKIP_1) | instid1(SALU_CYCLE_1)
	s_cmp_lg_u32 s2, 0
	s_add_co_ci_u32 s15, s15, s23
	s_mul_u64 s[20:21], s[20:21], s[14:15]
	s_delay_alu instid0(SALU_CYCLE_1)
	s_mul_hi_u32 s23, s14, s21
	s_mul_i32 s22, s14, s21
	s_mul_hi_u32 s24, s14, s20
	s_mul_i32 s9, s15, s20
	s_add_nc_u64 s[22:23], s[24:25], s[22:23]
	s_mul_hi_u32 s2, s15, s20
	s_mul_hi_u32 s26, s15, s21
	s_add_co_u32 s9, s22, s9
	s_add_co_ci_u32 s24, s23, s2
	s_mul_i32 s20, s15, s21
	s_add_co_ci_u32 s21, s26, 0
	s_delay_alu instid0(SALU_CYCLE_1) | instskip(NEXT) | instid1(SALU_CYCLE_1)
	s_add_nc_u64 s[20:21], s[24:25], s[20:21]
	s_add_co_u32 s2, s14, s20
	s_cselect_b32 s9, -1, 0
	v_mul_hi_u32 v28, v20, s2
	s_cmp_lg_u32 s9, 0
	s_add_co_ci_u32 s24, s15, s21
	s_mov_b64 s[14:15], 0xffffffff
	v_mul_u64_e32 v[24:25], s[24:25], v[20:21]
	s_and_b64 s[14:15], s[2:3], s[14:15]
	v_mul_u64_e32 v[26:27], s[24:25], v[22:23]
	v_mul_u64_e32 v[18:19], s[14:15], v[22:23]
	s_delay_alu instid0(VALU_DEP_3) | instskip(NEXT) | instid1(VALU_DEP_1)
	v_add_nc_u64_e32 v[24:25], v[28:29], v[24:25]
	v_add_co_u32 v14, vcc_lo, v24, v18
	s_delay_alu instid0(VALU_DEP_2) | instskip(SKIP_1) | instid1(VALU_DEP_1)
	v_add_co_ci_u32_e32 v14, vcc_lo, v25, v19, vcc_lo
	v_add_co_ci_u32_e32 v27, vcc_lo, 0, v27, vcc_lo
	v_add_nc_u64_e32 v[14:15], v[14:15], v[26:27]
	s_delay_alu instid0(VALU_DEP_1) | instskip(NEXT) | instid1(VALU_DEP_1)
	v_mul_u64_e32 v[18:19], s[12:13], v[14:15]
	v_sub_nc_u32_e32 v17, v22, v19
	s_delay_alu instid0(VALU_DEP_2) | instskip(NEXT) | instid1(VALU_DEP_1)
	v_sub_co_u32 v18, vcc_lo, v20, v18
	v_sub_co_ci_u32_e64 v22, null, v22, v19, vcc_lo
	s_delay_alu instid0(VALU_DEP_3) | instskip(NEXT) | instid1(VALU_DEP_3)
	v_subrev_co_ci_u32_e64 v17, null, s13, v17, vcc_lo
	v_sub_co_u32 v20, s2, v18, s12
	s_delay_alu instid0(VALU_DEP_1) | instskip(NEXT) | instid1(VALU_DEP_2)
	v_subrev_co_ci_u32_e64 v17, null, 0, v17, s2
	v_cmp_le_u32_e32 vcc_lo, s12, v20
	v_cndmask_b32_e64 v19, 0, -1, vcc_lo
	s_delay_alu instid0(VALU_DEP_3)
	v_cmp_le_u32_e32 vcc_lo, s13, v17
	v_cndmask_b32_e64 v20, 0, -1, vcc_lo
	v_cmp_le_u32_e32 vcc_lo, s12, v18
	v_cndmask_b32_e64 v23, 0, -1, vcc_lo
	;; [unrolled: 2-line block ×3, first 2 shown]
	v_cmp_eq_u32_e32 vcc_lo, s13, v17
	v_cndmask_b32_e32 v17, v20, v19, vcc_lo
	v_cmp_eq_u32_e32 vcc_lo, s13, v22
	v_add_nc_u64_e32 v[18:19], 2, v[14:15]
	v_add_nc_u64_e32 v[20:21], 1, v[14:15]
	v_cndmask_b32_e32 v22, v24, v23, vcc_lo
	v_cmp_ne_u32_e32 vcc_lo, 0, v17
	s_delay_alu instid0(VALU_DEP_2) | instskip(NEXT) | instid1(VALU_DEP_4)
	v_cmp_ne_u32_e64 s2, 0, v22
	v_dual_cndmask_b32 v18, v20, v18 :: v_dual_cndmask_b32 v17, v21, v19
	s_delay_alu instid0(VALU_DEP_1) | instskip(NEXT) | instid1(VALU_DEP_1)
	v_dual_cndmask_b32 v14, v14, v18, s2 :: v_dual_cndmask_b32 v15, v15, v17, s2
	v_dual_mov_b32 v17, v16 :: v_dual_bitop2_b32 v14, v14, v16 bitop3:0x14
	s_delay_alu instid0(VALU_DEP_2) | instskip(NEXT) | instid1(VALU_DEP_1)
	v_xor_b32_e32 v15, v15, v16
	v_sub_nc_u64_e32 v[16:17], v[14:15], v[16:17]
.LBB15_23:
	s_and_not1_saveexec_b32 s2, s3
	s_cbranch_execz .LBB15_25
; %bb.24:
	v_cvt_f32_u32_e32 v14, s40
	s_sub_co_i32 s3, 0, s40
	s_delay_alu instid0(VALU_DEP_1) | instskip(SKIP_1) | instid1(TRANS32_DEP_1)
	v_rcp_iflag_f32_e32 v14, v14
	v_nop
	v_mul_f32_e32 v14, 0x4f7ffffe, v14
	s_delay_alu instid0(VALU_DEP_1) | instskip(NEXT) | instid1(VALU_DEP_1)
	v_cvt_u32_f32_e32 v14, v14
	v_mul_lo_u32 v15, s3, v14
	s_delay_alu instid0(VALU_DEP_1) | instskip(NEXT) | instid1(VALU_DEP_1)
	v_mul_hi_u32 v15, v14, v15
	v_add_nc_u32_e32 v14, v14, v15
	s_delay_alu instid0(VALU_DEP_1) | instskip(NEXT) | instid1(VALU_DEP_1)
	v_mul_hi_u32 v14, v8, v14
	v_mul_lo_u32 v15, v14, s40
	s_delay_alu instid0(VALU_DEP_1) | instskip(NEXT) | instid1(VALU_DEP_1)
	v_dual_add_nc_u32 v16, 1, v14 :: v_dual_sub_nc_u32 v15, v8, v15
	v_subrev_nc_u32_e32 v17, s40, v15
	v_cmp_le_u32_e32 vcc_lo, s40, v15
	s_delay_alu instid0(VALU_DEP_2) | instskip(NEXT) | instid1(VALU_DEP_4)
	v_dual_cndmask_b32 v15, v15, v17, vcc_lo :: v_dual_mov_b32 v17, 0
	v_cndmask_b32_e32 v14, v14, v16, vcc_lo
	s_delay_alu instid0(VALU_DEP_2) | instskip(NEXT) | instid1(VALU_DEP_2)
	v_cmp_le_u32_e32 vcc_lo, s40, v15
	v_add_nc_u32_e32 v16, 1, v14
	s_delay_alu instid0(VALU_DEP_1)
	v_cndmask_b32_e32 v16, v14, v16, vcc_lo
.LBB15_25:
	s_or_b32 exec_lo, exec_lo, s2
	v_mul_u64_e32 v[14:15], s[10:11], v[10:11]
	s_load_b64 s[0:1], s[0:1], 0x80
	s_delay_alu instid0(VALU_DEP_1) | instskip(NEXT) | instid1(VALU_DEP_1)
	v_sub_nc_u64_e32 v[6:7], v[6:7], v[14:15]
	v_mad_nc_u64_u32 v[14:15], v6, s16, s[4:5]
	s_delay_alu instid0(VALU_DEP_1) | instskip(NEXT) | instid1(VALU_DEP_1)
	v_mad_u32 v7, v7, s16, v15
	v_mad_u32 v15, v6, s17, v7
	s_delay_alu instid0(VALU_DEP_1) | instskip(NEXT) | instid1(VALU_DEP_1)
	v_mad_nc_u64_u32 v[6:7], v10, s18, v[14:15]
	v_mad_u32 v7, v11, s18, v7
	s_delay_alu instid0(VALU_DEP_1) | instskip(NEXT) | instid1(VALU_DEP_1)
	v_mad_u32 v7, v10, s19, v7
	v_mad_nc_u64_u32 v[6:7], v2, s36, v[6:7]
	s_delay_alu instid0(VALU_DEP_1) | instskip(NEXT) | instid1(VALU_DEP_1)
	v_mad_u32 v3, v3, s36, v7
	v_mad_u32 v7, v2, s37, v3
	s_delay_alu instid0(VALU_DEP_1) | instskip(NEXT) | instid1(VALU_DEP_1)
	v_mad_nc_u64_u32 v[2:3], v0, s38, v[6:7]
	v_mad_u32 v1, v1, s38, v3
	s_delay_alu instid0(VALU_DEP_1) | instskip(SKIP_4) | instid1(VALU_DEP_1)
	v_mad_u32 v3, v0, s39, v1
	v_mul_u64_e32 v[0:1], s[40:41], v[16:17]
	global_load_b32 v6, v[2:3], off
	v_sub_nc_u64_e32 v[0:1], v[8:9], v[0:1]
	s_wait_xcnt 0x0
	v_mad_nc_u64_u32 v[2:3], v0, s46, s[6:7]
	s_delay_alu instid0(VALU_DEP_1) | instskip(NEXT) | instid1(VALU_DEP_1)
	v_mad_u32 v1, v1, s46, v3
	v_mad_u32 v3, v0, s47, v1
	s_delay_alu instid0(VALU_DEP_1) | instskip(NEXT) | instid1(VALU_DEP_1)
	v_mad_nc_u64_u32 v[0:1], v16, s48, v[2:3]
	v_mad_u32 v1, v17, s48, v1
	s_delay_alu instid0(VALU_DEP_1) | instskip(NEXT) | instid1(VALU_DEP_1)
	v_mad_u32 v1, v16, s49, v1
	v_mad_nc_u64_u32 v[0:1], v4, s50, v[0:1]
	s_delay_alu instid0(VALU_DEP_1) | instskip(NEXT) | instid1(VALU_DEP_1)
	v_mad_u32 v1, v5, s50, v1
	v_mad_u32 v1, v4, s51, v1
	s_wait_kmcnt 0x0
	s_delay_alu instid0(VALU_DEP_1) | instskip(NEXT) | instid1(VALU_DEP_1)
	v_mad_nc_u64_u32 v[0:1], v12, s0, v[0:1]
	v_mad_u32 v1, v13, s0, v1
	s_delay_alu instid0(VALU_DEP_1)
	v_mad_u32 v1, v12, s1, v1
	s_wait_loadcnt 0x0
	v_cvt_pk_bf16_f32 v2, v6, s0
	global_store_b16 v[0:1], v2, off
.LBB15_26:
	s_endpgm
	.section	.rodata,"a",@progbits
	.p2align	6, 0x0
	.amdhsa_kernel _ZL10cpy_scalarIXadL_ZL12cpy_1_scalarIf14__hip_bfloat16EvPKcPcEEEvS3_S4_lllllllllllllll
		.amdhsa_group_segment_fixed_size 0
		.amdhsa_private_segment_fixed_size 0
		.amdhsa_kernarg_size 392
		.amdhsa_user_sgpr_count 2
		.amdhsa_user_sgpr_dispatch_ptr 0
		.amdhsa_user_sgpr_queue_ptr 0
		.amdhsa_user_sgpr_kernarg_segment_ptr 1
		.amdhsa_user_sgpr_dispatch_id 0
		.amdhsa_user_sgpr_kernarg_preload_length 0
		.amdhsa_user_sgpr_kernarg_preload_offset 0
		.amdhsa_user_sgpr_private_segment_size 0
		.amdhsa_wavefront_size32 1
		.amdhsa_uses_dynamic_stack 0
		.amdhsa_enable_private_segment 0
		.amdhsa_system_sgpr_workgroup_id_x 1
		.amdhsa_system_sgpr_workgroup_id_y 0
		.amdhsa_system_sgpr_workgroup_id_z 0
		.amdhsa_system_sgpr_workgroup_info 0
		.amdhsa_system_vgpr_workitem_id 0
		.amdhsa_next_free_vgpr 30
		.amdhsa_next_free_sgpr 52
		.amdhsa_named_barrier_count 0
		.amdhsa_reserve_vcc 1
		.amdhsa_float_round_mode_32 0
		.amdhsa_float_round_mode_16_64 0
		.amdhsa_float_denorm_mode_32 3
		.amdhsa_float_denorm_mode_16_64 3
		.amdhsa_fp16_overflow 0
		.amdhsa_memory_ordered 1
		.amdhsa_forward_progress 1
		.amdhsa_inst_pref_size 40
		.amdhsa_round_robin_scheduling 0
		.amdhsa_exception_fp_ieee_invalid_op 0
		.amdhsa_exception_fp_denorm_src 0
		.amdhsa_exception_fp_ieee_div_zero 0
		.amdhsa_exception_fp_ieee_overflow 0
		.amdhsa_exception_fp_ieee_underflow 0
		.amdhsa_exception_fp_ieee_inexact 0
		.amdhsa_exception_int_div_zero 0
	.end_amdhsa_kernel
	.section	.text._ZL10cpy_scalarIXadL_ZL12cpy_1_scalarIf14__hip_bfloat16EvPKcPcEEEvS3_S4_lllllllllllllll,"axG",@progbits,_ZL10cpy_scalarIXadL_ZL12cpy_1_scalarIf14__hip_bfloat16EvPKcPcEEEvS3_S4_lllllllllllllll,comdat
.Lfunc_end15:
	.size	_ZL10cpy_scalarIXadL_ZL12cpy_1_scalarIf14__hip_bfloat16EvPKcPcEEEvS3_S4_lllllllllllllll, .Lfunc_end15-_ZL10cpy_scalarIXadL_ZL12cpy_1_scalarIf14__hip_bfloat16EvPKcPcEEEvS3_S4_lllllllllllllll
                                        ; -- End function
	.set _ZL10cpy_scalarIXadL_ZL12cpy_1_scalarIf14__hip_bfloat16EvPKcPcEEEvS3_S4_lllllllllllllll.num_vgpr, 30
	.set _ZL10cpy_scalarIXadL_ZL12cpy_1_scalarIf14__hip_bfloat16EvPKcPcEEEvS3_S4_lllllllllllllll.num_agpr, 0
	.set _ZL10cpy_scalarIXadL_ZL12cpy_1_scalarIf14__hip_bfloat16EvPKcPcEEEvS3_S4_lllllllllllllll.numbered_sgpr, 52
	.set _ZL10cpy_scalarIXadL_ZL12cpy_1_scalarIf14__hip_bfloat16EvPKcPcEEEvS3_S4_lllllllllllllll.num_named_barrier, 0
	.set _ZL10cpy_scalarIXadL_ZL12cpy_1_scalarIf14__hip_bfloat16EvPKcPcEEEvS3_S4_lllllllllllllll.private_seg_size, 0
	.set _ZL10cpy_scalarIXadL_ZL12cpy_1_scalarIf14__hip_bfloat16EvPKcPcEEEvS3_S4_lllllllllllllll.uses_vcc, 1
	.set _ZL10cpy_scalarIXadL_ZL12cpy_1_scalarIf14__hip_bfloat16EvPKcPcEEEvS3_S4_lllllllllllllll.uses_flat_scratch, 0
	.set _ZL10cpy_scalarIXadL_ZL12cpy_1_scalarIf14__hip_bfloat16EvPKcPcEEEvS3_S4_lllllllllllllll.has_dyn_sized_stack, 0
	.set _ZL10cpy_scalarIXadL_ZL12cpy_1_scalarIf14__hip_bfloat16EvPKcPcEEEvS3_S4_lllllllllllllll.has_recursion, 0
	.set _ZL10cpy_scalarIXadL_ZL12cpy_1_scalarIf14__hip_bfloat16EvPKcPcEEEvS3_S4_lllllllllllllll.has_indirect_call, 0
	.section	.AMDGPU.csdata,"",@progbits
; Kernel info:
; codeLenInByte = 5012
; TotalNumSgprs: 54
; NumVgprs: 30
; ScratchSize: 0
; MemoryBound: 0
; FloatMode: 240
; IeeeMode: 1
; LDSByteSize: 0 bytes/workgroup (compile time only)
; SGPRBlocks: 0
; VGPRBlocks: 1
; NumSGPRsForWavesPerEU: 54
; NumVGPRsForWavesPerEU: 30
; NamedBarCnt: 0
; Occupancy: 16
; WaveLimiterHint : 0
; COMPUTE_PGM_RSRC2:SCRATCH_EN: 0
; COMPUTE_PGM_RSRC2:USER_SGPR: 2
; COMPUTE_PGM_RSRC2:TRAP_HANDLER: 0
; COMPUTE_PGM_RSRC2:TGID_X_EN: 1
; COMPUTE_PGM_RSRC2:TGID_Y_EN: 0
; COMPUTE_PGM_RSRC2:TGID_Z_EN: 0
; COMPUTE_PGM_RSRC2:TIDIG_COMP_CNT: 0
	.section	.text._ZL21cpy_scalar_contiguousIf6__halfEvPKcPcl,"axG",@progbits,_ZL21cpy_scalar_contiguousIf6__halfEvPKcPcl,comdat
	.globl	_ZL21cpy_scalar_contiguousIf6__halfEvPKcPcl ; -- Begin function _ZL21cpy_scalar_contiguousIf6__halfEvPKcPcl
	.p2align	8
	.type	_ZL21cpy_scalar_contiguousIf6__halfEvPKcPcl,@function
_ZL21cpy_scalar_contiguousIf6__halfEvPKcPcl: ; @_ZL21cpy_scalar_contiguousIf6__halfEvPKcPcl
; %bb.0:
	s_clause 0x1
	s_load_b32 s4, s[0:1], 0x24
	s_load_b64 s[2:3], s[0:1], 0x10
	s_bfe_u32 s5, ttmp6, 0x4000c
	s_and_b32 s6, ttmp6, 15
	s_add_co_i32 s5, s5, 1
	s_getreg_b32 s7, hwreg(HW_REG_IB_STS2, 6, 4)
	s_mul_i32 s5, ttmp9, s5
	v_mov_b32_e32 v1, 0
	s_add_co_i32 s6, s6, s5
	s_wait_kmcnt 0x0
	s_and_b32 s4, s4, 0xffff
	s_cmp_eq_u32 s7, 0
	s_cselect_b32 s5, ttmp9, s6
	s_delay_alu instid0(SALU_CYCLE_1) | instskip(NEXT) | instid1(VALU_DEP_1)
	v_mad_nc_u64_u32 v[0:1], s4, s5, v[0:1]
	v_cmp_gt_i64_e32 vcc_lo, s[2:3], v[0:1]
	s_and_saveexec_b32 s2, vcc_lo
	s_cbranch_execz .LBB16_2
; %bb.1:
	s_load_b128 s[0:3], s[0:1], 0x0
	s_wait_kmcnt 0x0
	v_lshl_add_u64 v[2:3], v[0:1], 2, s[0:1]
	v_lshl_add_u64 v[0:1], v[0:1], 1, s[2:3]
	global_load_b32 v2, v[2:3], off
	s_wait_loadcnt 0x0
	v_cvt_f16_f32_e32 v2, v2
	global_store_b16 v[0:1], v2, off
.LBB16_2:
	s_endpgm
	.section	.rodata,"a",@progbits
	.p2align	6, 0x0
	.amdhsa_kernel _ZL21cpy_scalar_contiguousIf6__halfEvPKcPcl
		.amdhsa_group_segment_fixed_size 0
		.amdhsa_private_segment_fixed_size 0
		.amdhsa_kernarg_size 280
		.amdhsa_user_sgpr_count 2
		.amdhsa_user_sgpr_dispatch_ptr 0
		.amdhsa_user_sgpr_queue_ptr 0
		.amdhsa_user_sgpr_kernarg_segment_ptr 1
		.amdhsa_user_sgpr_dispatch_id 0
		.amdhsa_user_sgpr_kernarg_preload_length 0
		.amdhsa_user_sgpr_kernarg_preload_offset 0
		.amdhsa_user_sgpr_private_segment_size 0
		.amdhsa_wavefront_size32 1
		.amdhsa_uses_dynamic_stack 0
		.amdhsa_enable_private_segment 0
		.amdhsa_system_sgpr_workgroup_id_x 1
		.amdhsa_system_sgpr_workgroup_id_y 0
		.amdhsa_system_sgpr_workgroup_id_z 0
		.amdhsa_system_sgpr_workgroup_info 0
		.amdhsa_system_vgpr_workitem_id 0
		.amdhsa_next_free_vgpr 4
		.amdhsa_next_free_sgpr 8
		.amdhsa_named_barrier_count 0
		.amdhsa_reserve_vcc 1
		.amdhsa_float_round_mode_32 0
		.amdhsa_float_round_mode_16_64 0
		.amdhsa_float_denorm_mode_32 3
		.amdhsa_float_denorm_mode_16_64 3
		.amdhsa_fp16_overflow 0
		.amdhsa_memory_ordered 1
		.amdhsa_forward_progress 1
		.amdhsa_inst_pref_size 2
		.amdhsa_round_robin_scheduling 0
		.amdhsa_exception_fp_ieee_invalid_op 0
		.amdhsa_exception_fp_denorm_src 0
		.amdhsa_exception_fp_ieee_div_zero 0
		.amdhsa_exception_fp_ieee_overflow 0
		.amdhsa_exception_fp_ieee_underflow 0
		.amdhsa_exception_fp_ieee_inexact 0
		.amdhsa_exception_int_div_zero 0
	.end_amdhsa_kernel
	.section	.text._ZL21cpy_scalar_contiguousIf6__halfEvPKcPcl,"axG",@progbits,_ZL21cpy_scalar_contiguousIf6__halfEvPKcPcl,comdat
.Lfunc_end16:
	.size	_ZL21cpy_scalar_contiguousIf6__halfEvPKcPcl, .Lfunc_end16-_ZL21cpy_scalar_contiguousIf6__halfEvPKcPcl
                                        ; -- End function
	.set _ZL21cpy_scalar_contiguousIf6__halfEvPKcPcl.num_vgpr, 4
	.set _ZL21cpy_scalar_contiguousIf6__halfEvPKcPcl.num_agpr, 0
	.set _ZL21cpy_scalar_contiguousIf6__halfEvPKcPcl.numbered_sgpr, 8
	.set _ZL21cpy_scalar_contiguousIf6__halfEvPKcPcl.num_named_barrier, 0
	.set _ZL21cpy_scalar_contiguousIf6__halfEvPKcPcl.private_seg_size, 0
	.set _ZL21cpy_scalar_contiguousIf6__halfEvPKcPcl.uses_vcc, 1
	.set _ZL21cpy_scalar_contiguousIf6__halfEvPKcPcl.uses_flat_scratch, 0
	.set _ZL21cpy_scalar_contiguousIf6__halfEvPKcPcl.has_dyn_sized_stack, 0
	.set _ZL21cpy_scalar_contiguousIf6__halfEvPKcPcl.has_recursion, 0
	.set _ZL21cpy_scalar_contiguousIf6__halfEvPKcPcl.has_indirect_call, 0
	.section	.AMDGPU.csdata,"",@progbits
; Kernel info:
; codeLenInByte = 160
; TotalNumSgprs: 10
; NumVgprs: 4
; ScratchSize: 0
; MemoryBound: 0
; FloatMode: 240
; IeeeMode: 1
; LDSByteSize: 0 bytes/workgroup (compile time only)
; SGPRBlocks: 0
; VGPRBlocks: 0
; NumSGPRsForWavesPerEU: 10
; NumVGPRsForWavesPerEU: 4
; NamedBarCnt: 0
; Occupancy: 16
; WaveLimiterHint : 0
; COMPUTE_PGM_RSRC2:SCRATCH_EN: 0
; COMPUTE_PGM_RSRC2:USER_SGPR: 2
; COMPUTE_PGM_RSRC2:TRAP_HANDLER: 0
; COMPUTE_PGM_RSRC2:TGID_X_EN: 1
; COMPUTE_PGM_RSRC2:TGID_Y_EN: 0
; COMPUTE_PGM_RSRC2:TGID_Z_EN: 0
; COMPUTE_PGM_RSRC2:TIDIG_COMP_CNT: 0
	.section	.text._ZL20cpy_scalar_transposeI6__halfEvPKcPclllllllllllllll,"axG",@progbits,_ZL20cpy_scalar_transposeI6__halfEvPKcPclllllllllllllll,comdat
	.globl	_ZL20cpy_scalar_transposeI6__halfEvPKcPclllllllllllllll ; -- Begin function _ZL20cpy_scalar_transposeI6__halfEvPKcPclllllllllllllll
	.p2align	8
	.type	_ZL20cpy_scalar_transposeI6__halfEvPKcPclllllllllllllll,@function
_ZL20cpy_scalar_transposeI6__halfEvPKcPclllllllllllllll: ; @_ZL20cpy_scalar_transposeI6__halfEvPKcPclllllllllllllll
; %bb.0:
	s_clause 0x1
	s_load_b256 s[4:11], s[0:1], 0x0
	s_load_b64 s[12:13], s[0:1], 0x20
	s_wait_kmcnt 0x0
	s_mul_u64 s[14:15], s[12:13], s[10:11]
	s_delay_alu instid0(SALU_CYCLE_1) | instskip(NEXT) | instid1(SALU_CYCLE_1)
	s_or_b64 s[0:1], s[8:9], s[14:15]
	s_and_b64 s[0:1], s[0:1], 0xffffffff00000000
	s_delay_alu instid0(SALU_CYCLE_1)
	s_cmp_lg_u64 s[0:1], 0
	s_cbranch_scc0 .LBB17_127
; %bb.1:
	s_ashr_i32 s0, s15, 31
	s_delay_alu instid0(SALU_CYCLE_1) | instskip(NEXT) | instid1(SALU_CYCLE_1)
	s_mov_b32 s1, s0
	s_add_nc_u64 s[2:3], s[14:15], s[0:1]
	s_delay_alu instid0(SALU_CYCLE_1) | instskip(NEXT) | instid1(SALU_CYCLE_1)
	s_xor_b64 s[16:17], s[2:3], s[0:1]
	s_cvt_f32_u32 s2, s16
	s_cvt_f32_u32 s3, s17
	s_sub_nc_u64 s[20:21], 0, s[16:17]
	s_delay_alu instid0(SALU_CYCLE_2) | instskip(NEXT) | instid1(SALU_CYCLE_3)
	s_fmamk_f32 s2, s3, 0x4f800000, s2
	v_s_rcp_f32 s2, s2
	s_delay_alu instid0(TRANS32_DEP_1) | instskip(NEXT) | instid1(SALU_CYCLE_3)
	s_mul_f32 s2, s2, 0x5f7ffffc
	s_mul_f32 s3, s2, 0x2f800000
	s_delay_alu instid0(SALU_CYCLE_3) | instskip(NEXT) | instid1(SALU_CYCLE_3)
	s_trunc_f32 s3, s3
	s_fmamk_f32 s2, s3, 0xcf800000, s2
	s_cvt_u32_f32 s19, s3
	s_mov_b32 s3, 0
	s_delay_alu instid0(SALU_CYCLE_1) | instskip(NEXT) | instid1(SALU_CYCLE_3)
	s_cvt_u32_f32 s18, s2
	s_mul_u64 s[22:23], s[20:21], s[18:19]
	s_delay_alu instid0(SALU_CYCLE_1)
	s_mul_hi_u32 s25, s18, s23
	s_mul_i32 s24, s18, s23
	s_mul_hi_u32 s2, s18, s22
	s_mul_i32 s27, s19, s22
	s_add_nc_u64 s[24:25], s[2:3], s[24:25]
	s_mul_hi_u32 s26, s19, s22
	s_mul_hi_u32 s28, s19, s23
	s_add_co_u32 s2, s24, s27
	s_add_co_ci_u32 s2, s25, s26
	s_mul_i32 s22, s19, s23
	s_add_co_ci_u32 s23, s28, 0
	s_delay_alu instid0(SALU_CYCLE_1) | instskip(NEXT) | instid1(SALU_CYCLE_1)
	s_add_nc_u64 s[22:23], s[2:3], s[22:23]
	s_add_co_u32 s18, s18, s22
	s_cselect_b32 s2, -1, 0
	s_delay_alu instid0(SALU_CYCLE_1) | instskip(SKIP_1) | instid1(SALU_CYCLE_1)
	s_cmp_lg_u32 s2, 0
	s_add_co_ci_u32 s19, s19, s23
	s_mul_u64 s[20:21], s[20:21], s[18:19]
	s_delay_alu instid0(SALU_CYCLE_1)
	s_mul_hi_u32 s23, s18, s21
	s_mul_i32 s22, s18, s21
	s_mul_hi_u32 s2, s18, s20
	s_mul_i32 s25, s19, s20
	s_add_nc_u64 s[22:23], s[2:3], s[22:23]
	s_mul_hi_u32 s24, s19, s20
	s_mul_hi_u32 s26, s19, s21
	s_add_co_u32 s2, s22, s25
	s_add_co_ci_u32 s2, s23, s24
	s_mul_i32 s20, s19, s21
	s_add_co_ci_u32 s21, s26, 0
	s_delay_alu instid0(SALU_CYCLE_1) | instskip(NEXT) | instid1(SALU_CYCLE_1)
	s_add_nc_u64 s[20:21], s[2:3], s[20:21]
	s_add_co_u32 s24, s18, s20
	s_cselect_b32 s2, -1, 0
	s_delay_alu instid0(SALU_CYCLE_1) | instskip(SKIP_2) | instid1(SALU_CYCLE_1)
	s_cmp_lg_u32 s2, 0
	s_add_co_ci_u32 s25, s19, s21
	s_ashr_i32 s18, s9, 31
	s_mov_b32 s19, s18
	s_delay_alu instid0(SALU_CYCLE_1) | instskip(NEXT) | instid1(SALU_CYCLE_1)
	s_add_nc_u64 s[20:21], s[8:9], s[18:19]
	s_xor_b64 s[20:21], s[20:21], s[18:19]
	s_delay_alu instid0(SALU_CYCLE_1)
	s_mul_hi_u32 s23, s20, s25
	s_mul_i32 s22, s20, s25
	s_mul_hi_u32 s2, s20, s24
	s_mul_i32 s27, s21, s24
	s_add_nc_u64 s[22:23], s[2:3], s[22:23]
	s_mul_hi_u32 s26, s21, s24
	s_mul_hi_u32 s9, s21, s25
	s_add_co_u32 s2, s22, s27
	s_add_co_ci_u32 s2, s23, s26
	s_mul_i32 s24, s21, s25
	s_add_co_ci_u32 s25, s9, 0
	s_delay_alu instid0(SALU_CYCLE_1) | instskip(NEXT) | instid1(SALU_CYCLE_1)
	s_add_nc_u64 s[22:23], s[2:3], s[24:25]
	s_and_b64 s[24:25], s[22:23], 0xffffffff00000000
	s_delay_alu instid0(SALU_CYCLE_1) | instskip(NEXT) | instid1(SALU_CYCLE_1)
	s_or_b32 s24, s24, s22
	s_mul_u64 s[22:23], s[16:17], s[24:25]
	s_delay_alu instid0(SALU_CYCLE_1)
	s_sub_co_u32 s2, s20, s22
	s_cselect_b32 s9, -1, 0
	s_sub_co_i32 s20, s21, s23
	s_cmp_lg_u32 s9, 0
	s_sub_co_ci_u32 s20, s20, s17
	s_sub_co_u32 s22, s2, s16
	s_cselect_b32 s26, -1, 0
	s_delay_alu instid0(SALU_CYCLE_1) | instskip(SKIP_2) | instid1(SALU_CYCLE_1)
	s_cmp_lg_u32 s26, 0
	s_add_nc_u64 s[26:27], s[24:25], 1
	s_sub_co_ci_u32 s20, s20, 0
	s_cmp_ge_u32 s20, s17
	s_cselect_b32 s28, -1, 0
	s_cmp_ge_u32 s22, s16
	s_cselect_b32 s22, -1, 0
	s_cmp_eq_u32 s20, s17
	s_cselect_b32 s20, s22, s28
	s_add_nc_u64 s[28:29], s[24:25], 2
	s_cmp_lg_u32 s20, 0
	s_cselect_b32 s20, s28, s26
	s_cselect_b32 s22, s29, s27
	s_cmp_lg_u32 s9, 0
	s_sub_co_ci_u32 s9, s21, s23
	s_delay_alu instid0(SALU_CYCLE_1)
	s_cmp_ge_u32 s9, s17
	s_cselect_b32 s21, -1, 0
	s_cmp_ge_u32 s2, s16
	s_cselect_b32 s2, -1, 0
	s_cmp_eq_u32 s9, s17
	s_cselect_b32 s2, s2, s21
	s_delay_alu instid0(SALU_CYCLE_1) | instskip(SKIP_3) | instid1(SALU_CYCLE_1)
	s_cmp_lg_u32 s2, 0
	s_cselect_b32 s17, s22, s25
	s_cselect_b32 s16, s20, s24
	s_xor_b64 s[0:1], s[18:19], s[0:1]
	s_xor_b64 s[16:17], s[16:17], s[0:1]
	s_delay_alu instid0(SALU_CYCLE_1)
	s_sub_nc_u64 s[16:17], s[16:17], s[0:1]
	s_cbranch_execnz .LBB17_3
.LBB17_2:
	v_cvt_f32_u32_e32 v1, s14
	s_sub_co_i32 s1, 0, s14
	s_mov_b32 s17, 0
	s_delay_alu instid0(VALU_DEP_1) | instskip(SKIP_1) | instid1(TRANS32_DEP_1)
	v_rcp_iflag_f32_e32 v1, v1
	v_nop
	v_mul_f32_e32 v1, 0x4f7ffffe, v1
	s_delay_alu instid0(VALU_DEP_1) | instskip(NEXT) | instid1(VALU_DEP_1)
	v_cvt_u32_f32_e32 v1, v1
	v_readfirstlane_b32 s0, v1
	s_mul_i32 s1, s1, s0
	s_delay_alu instid0(SALU_CYCLE_1) | instskip(NEXT) | instid1(SALU_CYCLE_1)
	s_mul_hi_u32 s1, s0, s1
	s_add_co_i32 s0, s0, s1
	s_delay_alu instid0(SALU_CYCLE_1) | instskip(NEXT) | instid1(SALU_CYCLE_1)
	s_mul_hi_u32 s0, s8, s0
	s_mul_i32 s1, s0, s14
	s_add_co_i32 s2, s0, 1
	s_sub_co_i32 s1, s8, s1
	s_delay_alu instid0(SALU_CYCLE_1)
	s_sub_co_i32 s3, s1, s14
	s_cmp_ge_u32 s1, s14
	s_cselect_b32 s0, s2, s0
	s_cselect_b32 s1, s3, s1
	s_add_co_i32 s2, s0, 1
	s_cmp_ge_u32 s1, s14
	s_cselect_b32 s16, s2, s0
.LBB17_3:
	s_bfe_u32 s0, ttmp6, 0x40014
	s_lshr_b32 s1, ttmp7, 16
	s_add_co_i32 s0, s0, 1
	s_bfe_u32 s3, ttmp6, 0x40008
	s_mul_i32 s2, s1, s0
	s_getreg_b32 s0, hwreg(HW_REG_IB_STS2, 6, 4)
	s_add_co_i32 s3, s3, s2
	s_cmp_eq_u32 s0, 0
	s_mov_b32 s9, 0
	s_cselect_b32 s1, s1, s3
	s_delay_alu instid0(SALU_CYCLE_1) | instskip(NEXT) | instid1(SALU_CYCLE_1)
	s_lshl_b32 s8, s1, 3
	v_cmp_le_i64_e64 s1, s[16:17], s[8:9]
	s_and_b32 vcc_lo, exec_lo, s1
	s_cbranch_vccnz .LBB17_126
; %bb.4:
	s_bfe_u32 s1, ttmp6, 0x4000c
	s_bfe_u32 s3, ttmp6, 0x40010
	s_add_co_i32 s1, s1, 1
	s_and_b32 s18, ttmp7, 0xffff
	s_add_co_i32 s3, s3, 1
	s_and_b32 s2, ttmp6, 15
	s_mul_i32 s1, ttmp9, s1
	s_mul_i32 s3, s18, s3
	s_bfe_u32 s19, ttmp6, 0x40004
	s_add_co_i32 s2, s2, s1
	s_add_co_i32 s19, s19, s3
	s_cmp_eq_u32 s0, 0
	v_and_b32_e32 v9, 0x3ff, v0
	s_cselect_b32 s0, ttmp9, s2
	s_cselect_b32 s2, s18, s19
	s_lshl_b32 s1, s0, 5
	v_bfe_u32 v8, v0, 10, 10
	s_lshl_b32 s2, s2, 5
	v_dual_add_nc_u32 v2, s1, v9 :: v_dual_lshlrev_b32 v20, 2, v9
	s_delay_alu instid0(VALU_DEP_2) | instskip(SKIP_1) | instid1(VALU_DEP_3)
	v_add_nc_u32_e32 v0, s2, v8
	v_mul_u32_u24_e32 v19, 0x84, v8
	v_ashrrev_i32_e32 v3, 31, v2
	s_delay_alu instid0(VALU_DEP_1)
	v_cmp_gt_i64_e64 s0, s[12:13], v[2:3]
	v_lshl_add_u64 v[2:3], v[2:3], 1, s[4:5]
	s_mul_u64 s[4:5], s[14:15], s[8:9]
	s_and_saveexec_b32 s3, s0
	s_cbranch_execz .LBB17_13
; %bb.5:
	v_ashrrev_i32_e32 v1, 31, v0
	v_lshl_add_u64 v[4:5], s[4:5], 1, v[2:3]
	s_mov_b32 s9, exec_lo
	s_delay_alu instid0(VALU_DEP_2)
	v_cmpx_gt_i64_e64 s[10:11], v[0:1]
	s_cbranch_execz .LBB17_7
; %bb.6:
	v_mul_u64_e32 v[6:7], s[12:13], v[0:1]
	s_delay_alu instid0(VALU_DEP_1)
	v_lshl_add_u64 v[6:7], v[6:7], 1, v[4:5]
	global_load_u16 v1, v[6:7], off
	s_wait_xcnt 0x0
	v_add_nc_u32_e32 v6, v19, v20
	s_wait_loadcnt 0x0
	ds_store_b16 v6, v1
.LBB17_7:
	s_or_b32 exec_lo, exec_lo, s9
	v_add_nc_u32_e32 v6, 8, v0
	s_mov_b32 s9, exec_lo
	s_delay_alu instid0(VALU_DEP_1) | instskip(NEXT) | instid1(VALU_DEP_1)
	v_ashrrev_i32_e32 v7, 31, v6
	v_cmpx_gt_i64_e64 s[10:11], v[6:7]
	s_cbranch_execz .LBB17_9
; %bb.8:
	v_mul_u64_e32 v[6:7], s[12:13], v[6:7]
	s_delay_alu instid0(VALU_DEP_1)
	v_lshl_add_u64 v[6:7], v[6:7], 1, v[4:5]
	global_load_u16 v1, v[6:7], off
	s_wait_xcnt 0x0
	v_add_nc_u32_e32 v6, v19, v20
	s_wait_loadcnt 0x0
	ds_store_b16 v6, v1 offset:1056
.LBB17_9:
	s_or_b32 exec_lo, exec_lo, s9
	v_add_nc_u32_e32 v6, 16, v0
	s_mov_b32 s9, exec_lo
	s_delay_alu instid0(VALU_DEP_1) | instskip(NEXT) | instid1(VALU_DEP_1)
	v_ashrrev_i32_e32 v7, 31, v6
	v_cmpx_gt_i64_e64 s[10:11], v[6:7]
	s_cbranch_execz .LBB17_11
; %bb.10:
	v_mul_u64_e32 v[6:7], s[12:13], v[6:7]
	s_delay_alu instid0(VALU_DEP_1)
	v_lshl_add_u64 v[6:7], v[6:7], 1, v[4:5]
	global_load_u16 v1, v[6:7], off
	s_wait_xcnt 0x0
	v_add_nc_u32_e32 v6, v19, v20
	s_wait_loadcnt 0x0
	ds_store_b16 v6, v1 offset:2112
.LBB17_11:
	s_or_b32 exec_lo, exec_lo, s9
	v_add_nc_u32_e32 v6, 24, v0
	s_delay_alu instid0(VALU_DEP_1) | instskip(NEXT) | instid1(VALU_DEP_1)
	v_ashrrev_i32_e32 v7, 31, v6
	v_cmp_gt_i64_e32 vcc_lo, s[10:11], v[6:7]
	s_and_b32 exec_lo, exec_lo, vcc_lo
	s_cbranch_execz .LBB17_13
; %bb.12:
	v_mul_u64_e32 v[6:7], s[12:13], v[6:7]
	s_delay_alu instid0(VALU_DEP_1)
	v_lshl_add_u64 v[4:5], v[6:7], 1, v[4:5]
	global_load_u16 v1, v[4:5], off
	s_wait_xcnt 0x0
	v_add_nc_u32_e32 v4, v19, v20
	s_wait_loadcnt 0x0
	ds_store_b16 v4, v1 offset:3168
.LBB17_13:
	s_or_b32 exec_lo, exec_lo, s3
	v_dual_mov_b32 v7, 0 :: v_dual_add_nc_u32 v6, s2, v9
	v_add_nc_u32_e32 v4, s1, v8
	v_mul_u32_u24_e32 v1, 0x84, v9
	s_wait_dscnt 0x0
	s_barrier_signal -1
	v_cmp_le_i64_e32 vcc_lo, s[10:11], v[6:7]
	v_cmp_gt_i64_e64 s1, s[10:11], v[6:7]
	v_dual_lshlrev_b32 v6, 1, v6 :: v_dual_ashrrev_i32 v5, 31, v4
	v_lshl_add_u32 v18, v8, 2, v1
	s_barrier_wait -1
	s_delay_alu instid0(VALU_DEP_2) | instskip(NEXT) | instid1(VALU_DEP_3)
	v_add_nc_u64_e32 v[6:7], s[6:7], v[6:7]
	v_cmp_gt_i64_e64 s2, s[12:13], v[4:5]
	s_delay_alu instid0(VALU_DEP_2) | instskip(SKIP_1) | instid1(SALU_CYCLE_1)
	v_lshl_add_u64 v[14:15], s[4:5], 1, v[6:7]
	s_and_b32 s4, s2, s1
	s_and_saveexec_b32 s1, s4
	s_cbranch_execz .LBB17_15
; %bb.14:
	v_mul_u64_e32 v[8:9], s[10:11], v[4:5]
	ds_load_u16 v1, v18
	v_lshl_add_u64 v[8:9], v[8:9], 1, v[14:15]
	s_wait_dscnt 0x0
	global_store_b16 v[8:9], v1, off
.LBB17_15:
	s_wait_xcnt 0x0
	s_or_b32 exec_lo, exec_lo, s1
	v_add_nc_u32_e32 v8, 8, v4
	s_xor_b32 s2, vcc_lo, -1
	s_delay_alu instid0(VALU_DEP_1) | instskip(NEXT) | instid1(VALU_DEP_1)
	v_ashrrev_i32_e32 v9, 31, v8
	v_cmp_gt_i64_e64 s1, s[12:13], v[8:9]
	s_and_b32 s1, s1, s2
	s_delay_alu instid0(SALU_CYCLE_1)
	s_and_saveexec_b32 s3, s1
	s_cbranch_execz .LBB17_17
; %bb.16:
	v_mul_u64_e32 v[10:11], s[10:11], v[8:9]
	ds_load_u16 v1, v18 offset:32
	v_lshl_add_u64 v[10:11], v[10:11], 1, v[14:15]
	s_wait_dscnt 0x0
	global_store_b16 v[10:11], v1, off
.LBB17_17:
	s_wait_xcnt 0x0
	s_or_b32 exec_lo, exec_lo, s3
	v_add_nc_u32_e32 v10, 16, v4
	s_delay_alu instid0(VALU_DEP_1) | instskip(NEXT) | instid1(VALU_DEP_1)
	v_ashrrev_i32_e32 v11, 31, v10
	v_cmp_gt_i64_e32 vcc_lo, s[12:13], v[10:11]
	s_and_b32 s5, vcc_lo, s2
	s_delay_alu instid0(SALU_CYCLE_1)
	s_and_saveexec_b32 s3, s5
	s_cbranch_execz .LBB17_19
; %bb.18:
	v_mul_u64_e32 v[12:13], s[10:11], v[10:11]
	ds_load_u16 v1, v18 offset:64
	v_lshl_add_u64 v[12:13], v[12:13], 1, v[14:15]
	s_wait_dscnt 0x0
	global_store_b16 v[12:13], v1, off
.LBB17_19:
	s_wait_xcnt 0x0
	s_or_b32 exec_lo, exec_lo, s3
	v_add_nc_u32_e32 v12, 24, v4
	s_delay_alu instid0(VALU_DEP_1) | instskip(NEXT) | instid1(VALU_DEP_1)
	v_ashrrev_i32_e32 v13, 31, v12
	v_cmp_gt_i64_e32 vcc_lo, s[12:13], v[12:13]
	s_and_b32 s6, vcc_lo, s2
	s_delay_alu instid0(SALU_CYCLE_1)
	s_and_saveexec_b32 s2, s6
	s_cbranch_execz .LBB17_21
; %bb.20:
	v_mul_u64_e32 v[16:17], s[10:11], v[12:13]
	ds_load_u16 v1, v18 offset:96
	v_lshl_add_u64 v[14:15], v[16:17], 1, v[14:15]
	s_wait_dscnt 0x0
	global_store_b16 v[14:15], v1, off
.LBB17_21:
	s_wait_xcnt 0x0
	s_or_b32 exec_lo, exec_lo, s2
	s_or_b32 s2, s8, 1
	s_mov_b32 s3, 0
	s_delay_alu instid0(SALU_CYCLE_1)
	v_cmp_le_u64_e64 s7, s[16:17], s[2:3]
	s_and_b32 vcc_lo, exec_lo, s7
	s_cbranch_vccnz .LBB17_126
; %bb.22:
	s_mul_u64 s[2:3], s[14:15], s[2:3]
	s_and_saveexec_b32 s7, s0
	s_cbranch_execz .LBB17_31
; %bb.23:
	v_ashrrev_i32_e32 v1, 31, v0
	v_lshl_add_u64 v[14:15], s[2:3], 1, v[2:3]
	s_mov_b32 s9, exec_lo
	s_delay_alu instid0(VALU_DEP_2)
	v_cmpx_gt_i64_e64 s[10:11], v[0:1]
	s_cbranch_execz .LBB17_25
; %bb.24:
	v_mul_u64_e32 v[16:17], s[12:13], v[0:1]
	s_delay_alu instid0(VALU_DEP_1)
	v_lshl_add_u64 v[16:17], v[16:17], 1, v[14:15]
	global_load_u16 v1, v[16:17], off
	s_wait_xcnt 0x0
	v_add_nc_u32_e32 v16, v19, v20
	s_wait_loadcnt 0x0
	ds_store_b16 v16, v1 offset:4224
.LBB17_25:
	s_or_b32 exec_lo, exec_lo, s9
	v_add_nc_u32_e32 v16, 8, v0
	s_mov_b32 s9, exec_lo
	s_delay_alu instid0(VALU_DEP_1) | instskip(NEXT) | instid1(VALU_DEP_1)
	v_ashrrev_i32_e32 v17, 31, v16
	v_cmpx_gt_i64_e64 s[10:11], v[16:17]
	s_cbranch_execz .LBB17_27
; %bb.26:
	v_mul_u64_e32 v[16:17], s[12:13], v[16:17]
	s_delay_alu instid0(VALU_DEP_1)
	v_lshl_add_u64 v[16:17], v[16:17], 1, v[14:15]
	global_load_u16 v1, v[16:17], off
	s_wait_xcnt 0x0
	v_add_nc_u32_e32 v16, v19, v20
	s_wait_loadcnt 0x0
	ds_store_b16 v16, v1 offset:5280
.LBB17_27:
	s_or_b32 exec_lo, exec_lo, s9
	v_add_nc_u32_e32 v16, 16, v0
	s_mov_b32 s9, exec_lo
	s_delay_alu instid0(VALU_DEP_1) | instskip(NEXT) | instid1(VALU_DEP_1)
	v_ashrrev_i32_e32 v17, 31, v16
	v_cmpx_gt_i64_e64 s[10:11], v[16:17]
	s_cbranch_execz .LBB17_29
; %bb.28:
	v_mul_u64_e32 v[16:17], s[12:13], v[16:17]
	s_delay_alu instid0(VALU_DEP_1)
	v_lshl_add_u64 v[16:17], v[16:17], 1, v[14:15]
	global_load_u16 v1, v[16:17], off
	s_wait_xcnt 0x0
	v_add_nc_u32_e32 v16, v19, v20
	s_wait_loadcnt 0x0
	ds_store_b16 v16, v1 offset:6336
.LBB17_29:
	s_or_b32 exec_lo, exec_lo, s9
	v_add_nc_u32_e32 v16, 24, v0
	s_delay_alu instid0(VALU_DEP_1) | instskip(NEXT) | instid1(VALU_DEP_1)
	v_ashrrev_i32_e32 v17, 31, v16
	v_cmp_gt_i64_e32 vcc_lo, s[10:11], v[16:17]
	s_and_b32 exec_lo, exec_lo, vcc_lo
	s_cbranch_execz .LBB17_31
; %bb.30:
	v_mul_u64_e32 v[16:17], s[12:13], v[16:17]
	s_delay_alu instid0(VALU_DEP_1)
	v_lshl_add_u64 v[14:15], v[16:17], 1, v[14:15]
	global_load_u16 v1, v[14:15], off
	s_wait_xcnt 0x0
	v_add_nc_u32_e32 v14, v19, v20
	s_wait_loadcnt 0x0
	ds_store_b16 v14, v1 offset:7392
.LBB17_31:
	s_or_b32 exec_lo, exec_lo, s7
	v_lshl_add_u64 v[14:15], s[2:3], 1, v[6:7]
	s_wait_storecnt_dscnt 0x0
	s_barrier_signal -1
	s_barrier_wait -1
	s_and_saveexec_b32 s2, s4
	s_cbranch_execnz .LBB17_128
; %bb.32:
	s_or_b32 exec_lo, exec_lo, s2
	s_and_saveexec_b32 s2, s1
	s_cbranch_execnz .LBB17_129
.LBB17_33:
	s_or_b32 exec_lo, exec_lo, s2
	s_and_saveexec_b32 s2, s5
	s_cbranch_execnz .LBB17_130
.LBB17_34:
	s_or_b32 exec_lo, exec_lo, s2
	s_and_saveexec_b32 s2, s6
	s_cbranch_execz .LBB17_36
.LBB17_35:
	v_mul_u64_e32 v[16:17], s[10:11], v[12:13]
	ds_load_u16 v1, v18 offset:4320
	v_lshl_add_u64 v[14:15], v[16:17], 1, v[14:15]
	s_wait_dscnt 0x0
	global_store_b16 v[14:15], v1, off
.LBB17_36:
	s_wait_xcnt 0x0
	s_or_b32 exec_lo, exec_lo, s2
	s_or_b32 s2, s8, 2
	s_mov_b32 s3, 0
	s_delay_alu instid0(SALU_CYCLE_1)
	v_cmp_le_u64_e64 s7, s[16:17], s[2:3]
	s_and_b32 vcc_lo, exec_lo, s7
	s_cbranch_vccnz .LBB17_126
; %bb.37:
	s_mul_u64 s[2:3], s[14:15], s[2:3]
	s_and_saveexec_b32 s7, s0
	s_cbranch_execz .LBB17_46
; %bb.38:
	v_ashrrev_i32_e32 v1, 31, v0
	v_lshl_add_u64 v[14:15], s[2:3], 1, v[2:3]
	s_mov_b32 s9, exec_lo
	s_delay_alu instid0(VALU_DEP_2)
	v_cmpx_gt_i64_e64 s[10:11], v[0:1]
	s_cbranch_execz .LBB17_40
; %bb.39:
	v_mul_u64_e32 v[16:17], s[12:13], v[0:1]
	s_delay_alu instid0(VALU_DEP_1)
	v_lshl_add_u64 v[16:17], v[16:17], 1, v[14:15]
	global_load_u16 v1, v[16:17], off
	s_wait_xcnt 0x0
	v_add_nc_u32_e32 v16, v19, v20
	s_wait_loadcnt 0x0
	ds_store_b16 v16, v1
.LBB17_40:
	s_or_b32 exec_lo, exec_lo, s9
	v_add_nc_u32_e32 v16, 8, v0
	s_mov_b32 s9, exec_lo
	s_delay_alu instid0(VALU_DEP_1) | instskip(NEXT) | instid1(VALU_DEP_1)
	v_ashrrev_i32_e32 v17, 31, v16
	v_cmpx_gt_i64_e64 s[10:11], v[16:17]
	s_cbranch_execz .LBB17_42
; %bb.41:
	v_mul_u64_e32 v[16:17], s[12:13], v[16:17]
	s_delay_alu instid0(VALU_DEP_1)
	v_lshl_add_u64 v[16:17], v[16:17], 1, v[14:15]
	global_load_u16 v1, v[16:17], off
	s_wait_xcnt 0x0
	v_add_nc_u32_e32 v16, v19, v20
	s_wait_loadcnt 0x0
	ds_store_b16 v16, v1 offset:1056
.LBB17_42:
	s_or_b32 exec_lo, exec_lo, s9
	v_add_nc_u32_e32 v16, 16, v0
	s_mov_b32 s9, exec_lo
	s_delay_alu instid0(VALU_DEP_1) | instskip(NEXT) | instid1(VALU_DEP_1)
	v_ashrrev_i32_e32 v17, 31, v16
	v_cmpx_gt_i64_e64 s[10:11], v[16:17]
	s_cbranch_execz .LBB17_44
; %bb.43:
	v_mul_u64_e32 v[16:17], s[12:13], v[16:17]
	s_delay_alu instid0(VALU_DEP_1)
	v_lshl_add_u64 v[16:17], v[16:17], 1, v[14:15]
	global_load_u16 v1, v[16:17], off
	s_wait_xcnt 0x0
	v_add_nc_u32_e32 v16, v19, v20
	s_wait_loadcnt 0x0
	ds_store_b16 v16, v1 offset:2112
.LBB17_44:
	s_or_b32 exec_lo, exec_lo, s9
	v_add_nc_u32_e32 v16, 24, v0
	s_delay_alu instid0(VALU_DEP_1) | instskip(NEXT) | instid1(VALU_DEP_1)
	v_ashrrev_i32_e32 v17, 31, v16
	v_cmp_gt_i64_e32 vcc_lo, s[10:11], v[16:17]
	s_and_b32 exec_lo, exec_lo, vcc_lo
	s_cbranch_execz .LBB17_46
; %bb.45:
	v_mul_u64_e32 v[16:17], s[12:13], v[16:17]
	s_delay_alu instid0(VALU_DEP_1)
	v_lshl_add_u64 v[14:15], v[16:17], 1, v[14:15]
	global_load_u16 v1, v[14:15], off
	s_wait_xcnt 0x0
	v_add_nc_u32_e32 v14, v19, v20
	s_wait_loadcnt 0x0
	ds_store_b16 v14, v1 offset:3168
.LBB17_46:
	s_or_b32 exec_lo, exec_lo, s7
	v_lshl_add_u64 v[14:15], s[2:3], 1, v[6:7]
	s_wait_storecnt_dscnt 0x0
	s_barrier_signal -1
	s_barrier_wait -1
	s_and_saveexec_b32 s2, s4
	s_cbranch_execnz .LBB17_131
; %bb.47:
	s_or_b32 exec_lo, exec_lo, s2
	s_and_saveexec_b32 s2, s1
	s_cbranch_execnz .LBB17_132
.LBB17_48:
	s_or_b32 exec_lo, exec_lo, s2
	s_and_saveexec_b32 s2, s5
	s_cbranch_execnz .LBB17_133
.LBB17_49:
	s_or_b32 exec_lo, exec_lo, s2
	s_and_saveexec_b32 s2, s6
	s_cbranch_execz .LBB17_51
.LBB17_50:
	v_mul_u64_e32 v[16:17], s[10:11], v[12:13]
	ds_load_u16 v1, v18 offset:96
	v_lshl_add_u64 v[14:15], v[16:17], 1, v[14:15]
	s_wait_dscnt 0x0
	global_store_b16 v[14:15], v1, off
.LBB17_51:
	s_wait_xcnt 0x0
	s_or_b32 exec_lo, exec_lo, s2
	s_or_b32 s2, s8, 3
	s_mov_b32 s3, 0
	s_delay_alu instid0(SALU_CYCLE_1)
	v_cmp_le_u64_e64 s7, s[16:17], s[2:3]
	s_and_b32 vcc_lo, exec_lo, s7
	s_cbranch_vccnz .LBB17_126
; %bb.52:
	s_mul_u64 s[2:3], s[14:15], s[2:3]
	s_and_saveexec_b32 s7, s0
	s_cbranch_execz .LBB17_61
; %bb.53:
	v_ashrrev_i32_e32 v1, 31, v0
	v_lshl_add_u64 v[14:15], s[2:3], 1, v[2:3]
	s_mov_b32 s9, exec_lo
	s_delay_alu instid0(VALU_DEP_2)
	v_cmpx_gt_i64_e64 s[10:11], v[0:1]
	s_cbranch_execz .LBB17_55
; %bb.54:
	v_mul_u64_e32 v[16:17], s[12:13], v[0:1]
	s_delay_alu instid0(VALU_DEP_1)
	v_lshl_add_u64 v[16:17], v[16:17], 1, v[14:15]
	global_load_u16 v1, v[16:17], off
	s_wait_xcnt 0x0
	v_add_nc_u32_e32 v16, v19, v20
	s_wait_loadcnt 0x0
	ds_store_b16 v16, v1 offset:4224
.LBB17_55:
	s_or_b32 exec_lo, exec_lo, s9
	v_add_nc_u32_e32 v16, 8, v0
	s_mov_b32 s9, exec_lo
	s_delay_alu instid0(VALU_DEP_1) | instskip(NEXT) | instid1(VALU_DEP_1)
	v_ashrrev_i32_e32 v17, 31, v16
	v_cmpx_gt_i64_e64 s[10:11], v[16:17]
	s_cbranch_execz .LBB17_57
; %bb.56:
	v_mul_u64_e32 v[16:17], s[12:13], v[16:17]
	s_delay_alu instid0(VALU_DEP_1)
	v_lshl_add_u64 v[16:17], v[16:17], 1, v[14:15]
	global_load_u16 v1, v[16:17], off
	s_wait_xcnt 0x0
	v_add_nc_u32_e32 v16, v19, v20
	s_wait_loadcnt 0x0
	ds_store_b16 v16, v1 offset:5280
.LBB17_57:
	s_or_b32 exec_lo, exec_lo, s9
	v_add_nc_u32_e32 v16, 16, v0
	s_mov_b32 s9, exec_lo
	s_delay_alu instid0(VALU_DEP_1) | instskip(NEXT) | instid1(VALU_DEP_1)
	v_ashrrev_i32_e32 v17, 31, v16
	v_cmpx_gt_i64_e64 s[10:11], v[16:17]
	s_cbranch_execz .LBB17_59
; %bb.58:
	v_mul_u64_e32 v[16:17], s[12:13], v[16:17]
	s_delay_alu instid0(VALU_DEP_1)
	v_lshl_add_u64 v[16:17], v[16:17], 1, v[14:15]
	global_load_u16 v1, v[16:17], off
	s_wait_xcnt 0x0
	v_add_nc_u32_e32 v16, v19, v20
	s_wait_loadcnt 0x0
	ds_store_b16 v16, v1 offset:6336
.LBB17_59:
	s_or_b32 exec_lo, exec_lo, s9
	v_add_nc_u32_e32 v16, 24, v0
	s_delay_alu instid0(VALU_DEP_1) | instskip(NEXT) | instid1(VALU_DEP_1)
	v_ashrrev_i32_e32 v17, 31, v16
	v_cmp_gt_i64_e32 vcc_lo, s[10:11], v[16:17]
	s_and_b32 exec_lo, exec_lo, vcc_lo
	s_cbranch_execz .LBB17_61
; %bb.60:
	v_mul_u64_e32 v[16:17], s[12:13], v[16:17]
	s_delay_alu instid0(VALU_DEP_1)
	v_lshl_add_u64 v[14:15], v[16:17], 1, v[14:15]
	global_load_u16 v1, v[14:15], off
	s_wait_xcnt 0x0
	v_add_nc_u32_e32 v14, v19, v20
	s_wait_loadcnt 0x0
	ds_store_b16 v14, v1 offset:7392
.LBB17_61:
	s_or_b32 exec_lo, exec_lo, s7
	v_lshl_add_u64 v[14:15], s[2:3], 1, v[6:7]
	s_wait_storecnt_dscnt 0x0
	s_barrier_signal -1
	s_barrier_wait -1
	s_and_saveexec_b32 s2, s4
	s_cbranch_execnz .LBB17_134
; %bb.62:
	s_or_b32 exec_lo, exec_lo, s2
	s_and_saveexec_b32 s2, s1
	s_cbranch_execnz .LBB17_135
.LBB17_63:
	s_or_b32 exec_lo, exec_lo, s2
	s_and_saveexec_b32 s2, s5
	s_cbranch_execnz .LBB17_136
.LBB17_64:
	s_or_b32 exec_lo, exec_lo, s2
	s_and_saveexec_b32 s2, s6
	s_cbranch_execz .LBB17_66
.LBB17_65:
	v_mul_u64_e32 v[16:17], s[10:11], v[12:13]
	ds_load_u16 v1, v18 offset:4320
	v_lshl_add_u64 v[14:15], v[16:17], 1, v[14:15]
	s_wait_dscnt 0x0
	global_store_b16 v[14:15], v1, off
.LBB17_66:
	s_wait_xcnt 0x0
	s_or_b32 exec_lo, exec_lo, s2
	s_or_b32 s2, s8, 4
	s_mov_b32 s3, 0
	s_delay_alu instid0(SALU_CYCLE_1)
	v_cmp_le_u64_e64 s7, s[16:17], s[2:3]
	s_and_b32 vcc_lo, exec_lo, s7
	s_cbranch_vccnz .LBB17_126
; %bb.67:
	s_mul_u64 s[2:3], s[14:15], s[2:3]
	s_and_saveexec_b32 s7, s0
	s_cbranch_execz .LBB17_76
; %bb.68:
	v_ashrrev_i32_e32 v1, 31, v0
	v_lshl_add_u64 v[14:15], s[2:3], 1, v[2:3]
	s_mov_b32 s9, exec_lo
	s_delay_alu instid0(VALU_DEP_2)
	v_cmpx_gt_i64_e64 s[10:11], v[0:1]
	s_cbranch_execz .LBB17_70
; %bb.69:
	v_mul_u64_e32 v[16:17], s[12:13], v[0:1]
	s_delay_alu instid0(VALU_DEP_1)
	v_lshl_add_u64 v[16:17], v[16:17], 1, v[14:15]
	global_load_u16 v1, v[16:17], off
	s_wait_xcnt 0x0
	v_add_nc_u32_e32 v16, v19, v20
	s_wait_loadcnt 0x0
	ds_store_b16 v16, v1
.LBB17_70:
	s_or_b32 exec_lo, exec_lo, s9
	v_add_nc_u32_e32 v16, 8, v0
	s_mov_b32 s9, exec_lo
	s_delay_alu instid0(VALU_DEP_1) | instskip(NEXT) | instid1(VALU_DEP_1)
	v_ashrrev_i32_e32 v17, 31, v16
	v_cmpx_gt_i64_e64 s[10:11], v[16:17]
	s_cbranch_execz .LBB17_72
; %bb.71:
	v_mul_u64_e32 v[16:17], s[12:13], v[16:17]
	s_delay_alu instid0(VALU_DEP_1)
	v_lshl_add_u64 v[16:17], v[16:17], 1, v[14:15]
	global_load_u16 v1, v[16:17], off
	s_wait_xcnt 0x0
	v_add_nc_u32_e32 v16, v19, v20
	s_wait_loadcnt 0x0
	ds_store_b16 v16, v1 offset:1056
.LBB17_72:
	s_or_b32 exec_lo, exec_lo, s9
	v_add_nc_u32_e32 v16, 16, v0
	s_mov_b32 s9, exec_lo
	s_delay_alu instid0(VALU_DEP_1) | instskip(NEXT) | instid1(VALU_DEP_1)
	v_ashrrev_i32_e32 v17, 31, v16
	v_cmpx_gt_i64_e64 s[10:11], v[16:17]
	s_cbranch_execz .LBB17_74
; %bb.73:
	v_mul_u64_e32 v[16:17], s[12:13], v[16:17]
	s_delay_alu instid0(VALU_DEP_1)
	v_lshl_add_u64 v[16:17], v[16:17], 1, v[14:15]
	global_load_u16 v1, v[16:17], off
	s_wait_xcnt 0x0
	v_add_nc_u32_e32 v16, v19, v20
	s_wait_loadcnt 0x0
	ds_store_b16 v16, v1 offset:2112
.LBB17_74:
	s_or_b32 exec_lo, exec_lo, s9
	v_add_nc_u32_e32 v16, 24, v0
	s_delay_alu instid0(VALU_DEP_1) | instskip(NEXT) | instid1(VALU_DEP_1)
	v_ashrrev_i32_e32 v17, 31, v16
	v_cmp_gt_i64_e32 vcc_lo, s[10:11], v[16:17]
	s_and_b32 exec_lo, exec_lo, vcc_lo
	s_cbranch_execz .LBB17_76
; %bb.75:
	v_mul_u64_e32 v[16:17], s[12:13], v[16:17]
	s_delay_alu instid0(VALU_DEP_1)
	v_lshl_add_u64 v[14:15], v[16:17], 1, v[14:15]
	global_load_u16 v1, v[14:15], off
	s_wait_xcnt 0x0
	v_add_nc_u32_e32 v14, v19, v20
	s_wait_loadcnt 0x0
	ds_store_b16 v14, v1 offset:3168
.LBB17_76:
	s_or_b32 exec_lo, exec_lo, s7
	v_lshl_add_u64 v[14:15], s[2:3], 1, v[6:7]
	s_wait_storecnt_dscnt 0x0
	s_barrier_signal -1
	s_barrier_wait -1
	s_and_saveexec_b32 s2, s4
	s_cbranch_execnz .LBB17_137
; %bb.77:
	s_or_b32 exec_lo, exec_lo, s2
	s_and_saveexec_b32 s2, s1
	s_cbranch_execnz .LBB17_138
.LBB17_78:
	s_or_b32 exec_lo, exec_lo, s2
	s_and_saveexec_b32 s2, s5
	s_cbranch_execnz .LBB17_139
.LBB17_79:
	s_or_b32 exec_lo, exec_lo, s2
	s_and_saveexec_b32 s2, s6
	s_cbranch_execz .LBB17_81
.LBB17_80:
	v_mul_u64_e32 v[16:17], s[10:11], v[12:13]
	ds_load_u16 v1, v18 offset:96
	v_lshl_add_u64 v[14:15], v[16:17], 1, v[14:15]
	s_wait_dscnt 0x0
	global_store_b16 v[14:15], v1, off
.LBB17_81:
	s_wait_xcnt 0x0
	s_or_b32 exec_lo, exec_lo, s2
	s_or_b32 s2, s8, 5
	s_mov_b32 s3, 0
	s_delay_alu instid0(SALU_CYCLE_1)
	v_cmp_le_u64_e64 s7, s[16:17], s[2:3]
	s_and_b32 vcc_lo, exec_lo, s7
	s_cbranch_vccnz .LBB17_126
; %bb.82:
	s_mul_u64 s[2:3], s[14:15], s[2:3]
	s_and_saveexec_b32 s7, s0
	s_cbranch_execz .LBB17_91
; %bb.83:
	v_ashrrev_i32_e32 v1, 31, v0
	v_lshl_add_u64 v[14:15], s[2:3], 1, v[2:3]
	s_mov_b32 s9, exec_lo
	s_delay_alu instid0(VALU_DEP_2)
	v_cmpx_gt_i64_e64 s[10:11], v[0:1]
	s_cbranch_execz .LBB17_85
; %bb.84:
	v_mul_u64_e32 v[16:17], s[12:13], v[0:1]
	s_delay_alu instid0(VALU_DEP_1)
	v_lshl_add_u64 v[16:17], v[16:17], 1, v[14:15]
	global_load_u16 v1, v[16:17], off
	s_wait_xcnt 0x0
	v_add_nc_u32_e32 v16, v19, v20
	s_wait_loadcnt 0x0
	ds_store_b16 v16, v1 offset:4224
.LBB17_85:
	s_or_b32 exec_lo, exec_lo, s9
	v_add_nc_u32_e32 v16, 8, v0
	s_mov_b32 s9, exec_lo
	s_delay_alu instid0(VALU_DEP_1) | instskip(NEXT) | instid1(VALU_DEP_1)
	v_ashrrev_i32_e32 v17, 31, v16
	v_cmpx_gt_i64_e64 s[10:11], v[16:17]
	s_cbranch_execz .LBB17_87
; %bb.86:
	v_mul_u64_e32 v[16:17], s[12:13], v[16:17]
	s_delay_alu instid0(VALU_DEP_1)
	v_lshl_add_u64 v[16:17], v[16:17], 1, v[14:15]
	global_load_u16 v1, v[16:17], off
	s_wait_xcnt 0x0
	v_add_nc_u32_e32 v16, v19, v20
	s_wait_loadcnt 0x0
	ds_store_b16 v16, v1 offset:5280
.LBB17_87:
	s_or_b32 exec_lo, exec_lo, s9
	v_add_nc_u32_e32 v16, 16, v0
	s_mov_b32 s9, exec_lo
	s_delay_alu instid0(VALU_DEP_1) | instskip(NEXT) | instid1(VALU_DEP_1)
	v_ashrrev_i32_e32 v17, 31, v16
	v_cmpx_gt_i64_e64 s[10:11], v[16:17]
	s_cbranch_execz .LBB17_89
; %bb.88:
	v_mul_u64_e32 v[16:17], s[12:13], v[16:17]
	s_delay_alu instid0(VALU_DEP_1)
	v_lshl_add_u64 v[16:17], v[16:17], 1, v[14:15]
	global_load_u16 v1, v[16:17], off
	s_wait_xcnt 0x0
	v_add_nc_u32_e32 v16, v19, v20
	s_wait_loadcnt 0x0
	ds_store_b16 v16, v1 offset:6336
.LBB17_89:
	s_or_b32 exec_lo, exec_lo, s9
	v_add_nc_u32_e32 v16, 24, v0
	s_delay_alu instid0(VALU_DEP_1) | instskip(NEXT) | instid1(VALU_DEP_1)
	v_ashrrev_i32_e32 v17, 31, v16
	v_cmp_gt_i64_e32 vcc_lo, s[10:11], v[16:17]
	s_and_b32 exec_lo, exec_lo, vcc_lo
	s_cbranch_execz .LBB17_91
; %bb.90:
	v_mul_u64_e32 v[16:17], s[12:13], v[16:17]
	s_delay_alu instid0(VALU_DEP_1)
	v_lshl_add_u64 v[14:15], v[16:17], 1, v[14:15]
	global_load_u16 v1, v[14:15], off
	s_wait_xcnt 0x0
	v_add_nc_u32_e32 v14, v19, v20
	s_wait_loadcnt 0x0
	ds_store_b16 v14, v1 offset:7392
.LBB17_91:
	s_or_b32 exec_lo, exec_lo, s7
	v_lshl_add_u64 v[14:15], s[2:3], 1, v[6:7]
	s_wait_storecnt_dscnt 0x0
	s_barrier_signal -1
	s_barrier_wait -1
	s_and_saveexec_b32 s2, s4
	s_cbranch_execnz .LBB17_140
; %bb.92:
	s_or_b32 exec_lo, exec_lo, s2
	s_and_saveexec_b32 s2, s1
	s_cbranch_execnz .LBB17_141
.LBB17_93:
	s_or_b32 exec_lo, exec_lo, s2
	s_and_saveexec_b32 s2, s5
	s_cbranch_execnz .LBB17_142
.LBB17_94:
	s_or_b32 exec_lo, exec_lo, s2
	s_and_saveexec_b32 s2, s6
	s_cbranch_execz .LBB17_96
.LBB17_95:
	v_mul_u64_e32 v[16:17], s[10:11], v[12:13]
	ds_load_u16 v1, v18 offset:4320
	v_lshl_add_u64 v[14:15], v[16:17], 1, v[14:15]
	s_wait_dscnt 0x0
	global_store_b16 v[14:15], v1, off
.LBB17_96:
	s_wait_xcnt 0x0
	s_or_b32 exec_lo, exec_lo, s2
	s_or_b32 s2, s8, 6
	s_mov_b32 s3, 0
	s_delay_alu instid0(SALU_CYCLE_1)
	v_cmp_le_u64_e64 s7, s[16:17], s[2:3]
	s_and_b32 vcc_lo, exec_lo, s7
	s_cbranch_vccnz .LBB17_126
; %bb.97:
	s_mul_u64 s[2:3], s[14:15], s[2:3]
	s_and_saveexec_b32 s7, s0
	s_cbranch_execz .LBB17_106
; %bb.98:
	v_ashrrev_i32_e32 v1, 31, v0
	v_lshl_add_u64 v[14:15], s[2:3], 1, v[2:3]
	s_mov_b32 s9, exec_lo
	s_delay_alu instid0(VALU_DEP_2)
	v_cmpx_gt_i64_e64 s[10:11], v[0:1]
	s_cbranch_execz .LBB17_100
; %bb.99:
	v_mul_u64_e32 v[16:17], s[12:13], v[0:1]
	s_delay_alu instid0(VALU_DEP_1)
	v_lshl_add_u64 v[16:17], v[16:17], 1, v[14:15]
	global_load_u16 v1, v[16:17], off
	s_wait_xcnt 0x0
	v_add_nc_u32_e32 v16, v19, v20
	s_wait_loadcnt 0x0
	ds_store_b16 v16, v1
.LBB17_100:
	s_or_b32 exec_lo, exec_lo, s9
	v_add_nc_u32_e32 v16, 8, v0
	s_mov_b32 s9, exec_lo
	s_delay_alu instid0(VALU_DEP_1) | instskip(NEXT) | instid1(VALU_DEP_1)
	v_ashrrev_i32_e32 v17, 31, v16
	v_cmpx_gt_i64_e64 s[10:11], v[16:17]
	s_cbranch_execz .LBB17_102
; %bb.101:
	v_mul_u64_e32 v[16:17], s[12:13], v[16:17]
	s_delay_alu instid0(VALU_DEP_1)
	v_lshl_add_u64 v[16:17], v[16:17], 1, v[14:15]
	global_load_u16 v1, v[16:17], off
	s_wait_xcnt 0x0
	v_add_nc_u32_e32 v16, v19, v20
	s_wait_loadcnt 0x0
	ds_store_b16 v16, v1 offset:1056
.LBB17_102:
	s_or_b32 exec_lo, exec_lo, s9
	v_add_nc_u32_e32 v16, 16, v0
	s_mov_b32 s9, exec_lo
	s_delay_alu instid0(VALU_DEP_1) | instskip(NEXT) | instid1(VALU_DEP_1)
	v_ashrrev_i32_e32 v17, 31, v16
	v_cmpx_gt_i64_e64 s[10:11], v[16:17]
	s_cbranch_execz .LBB17_104
; %bb.103:
	v_mul_u64_e32 v[16:17], s[12:13], v[16:17]
	s_delay_alu instid0(VALU_DEP_1)
	v_lshl_add_u64 v[16:17], v[16:17], 1, v[14:15]
	global_load_u16 v1, v[16:17], off
	s_wait_xcnt 0x0
	v_add_nc_u32_e32 v16, v19, v20
	s_wait_loadcnt 0x0
	ds_store_b16 v16, v1 offset:2112
.LBB17_104:
	s_or_b32 exec_lo, exec_lo, s9
	v_add_nc_u32_e32 v16, 24, v0
	s_delay_alu instid0(VALU_DEP_1) | instskip(NEXT) | instid1(VALU_DEP_1)
	v_ashrrev_i32_e32 v17, 31, v16
	v_cmp_gt_i64_e32 vcc_lo, s[10:11], v[16:17]
	s_and_b32 exec_lo, exec_lo, vcc_lo
	s_cbranch_execz .LBB17_106
; %bb.105:
	v_mul_u64_e32 v[16:17], s[12:13], v[16:17]
	s_delay_alu instid0(VALU_DEP_1)
	v_lshl_add_u64 v[14:15], v[16:17], 1, v[14:15]
	global_load_u16 v1, v[14:15], off
	s_wait_xcnt 0x0
	v_add_nc_u32_e32 v14, v19, v20
	s_wait_loadcnt 0x0
	ds_store_b16 v14, v1 offset:3168
.LBB17_106:
	s_or_b32 exec_lo, exec_lo, s7
	v_lshl_add_u64 v[14:15], s[2:3], 1, v[6:7]
	s_wait_storecnt_dscnt 0x0
	s_barrier_signal -1
	s_barrier_wait -1
	s_and_saveexec_b32 s2, s4
	s_cbranch_execnz .LBB17_143
; %bb.107:
	s_or_b32 exec_lo, exec_lo, s2
	s_and_saveexec_b32 s2, s1
	s_cbranch_execnz .LBB17_144
.LBB17_108:
	s_or_b32 exec_lo, exec_lo, s2
	s_and_saveexec_b32 s2, s5
	s_cbranch_execnz .LBB17_145
.LBB17_109:
	s_or_b32 exec_lo, exec_lo, s2
	s_and_saveexec_b32 s2, s6
	s_cbranch_execz .LBB17_111
.LBB17_110:
	v_mul_u64_e32 v[16:17], s[10:11], v[12:13]
	ds_load_u16 v1, v18 offset:96
	v_lshl_add_u64 v[14:15], v[16:17], 1, v[14:15]
	s_wait_dscnt 0x0
	global_store_b16 v[14:15], v1, off
.LBB17_111:
	s_wait_xcnt 0x0
	s_or_b32 exec_lo, exec_lo, s2
	s_or_b32 s2, s8, 7
	s_mov_b32 s3, 0
	s_delay_alu instid0(SALU_CYCLE_1)
	v_cmp_le_u64_e64 s7, s[16:17], s[2:3]
	s_and_b32 vcc_lo, exec_lo, s7
	s_cbranch_vccnz .LBB17_126
; %bb.112:
	s_mul_u64 s[2:3], s[14:15], s[2:3]
	s_and_saveexec_b32 s7, s0
	s_cbranch_execz .LBB17_121
; %bb.113:
	v_ashrrev_i32_e32 v1, 31, v0
	v_lshl_add_u64 v[2:3], s[2:3], 1, v[2:3]
	v_add_nc_u32_e32 v16, v19, v20
	s_mov_b32 s0, exec_lo
	s_delay_alu instid0(VALU_DEP_3)
	v_cmpx_gt_i64_e64 s[10:11], v[0:1]
	s_cbranch_execz .LBB17_115
; %bb.114:
	v_mul_u64_e32 v[14:15], s[12:13], v[0:1]
	s_delay_alu instid0(VALU_DEP_1)
	v_lshl_add_u64 v[14:15], v[14:15], 1, v[2:3]
	global_load_u16 v1, v[14:15], off
	s_wait_loadcnt 0x0
	ds_store_b16 v16, v1 offset:4224
.LBB17_115:
	s_wait_xcnt 0x0
	s_or_b32 exec_lo, exec_lo, s0
	v_add_nc_u32_e32 v14, 8, v0
	s_mov_b32 s0, exec_lo
	s_delay_alu instid0(VALU_DEP_1) | instskip(NEXT) | instid1(VALU_DEP_1)
	v_ashrrev_i32_e32 v15, 31, v14
	v_cmpx_gt_i64_e64 s[10:11], v[14:15]
	s_cbranch_execz .LBB17_117
; %bb.116:
	v_mul_u64_e32 v[14:15], s[12:13], v[14:15]
	s_delay_alu instid0(VALU_DEP_1)
	v_lshl_add_u64 v[14:15], v[14:15], 1, v[2:3]
	global_load_u16 v1, v[14:15], off
	s_wait_loadcnt 0x0
	ds_store_b16 v16, v1 offset:5280
.LBB17_117:
	s_wait_xcnt 0x0
	s_or_b32 exec_lo, exec_lo, s0
	v_add_nc_u32_e32 v14, 16, v0
	s_mov_b32 s0, exec_lo
	s_delay_alu instid0(VALU_DEP_1) | instskip(NEXT) | instid1(VALU_DEP_1)
	v_ashrrev_i32_e32 v15, 31, v14
	v_cmpx_gt_i64_e64 s[10:11], v[14:15]
	s_cbranch_execz .LBB17_119
; %bb.118:
	v_mul_u64_e32 v[14:15], s[12:13], v[14:15]
	s_delay_alu instid0(VALU_DEP_1)
	v_lshl_add_u64 v[14:15], v[14:15], 1, v[2:3]
	global_load_u16 v1, v[14:15], off
	s_wait_loadcnt 0x0
	ds_store_b16 v16, v1 offset:6336
.LBB17_119:
	s_wait_xcnt 0x0
	s_or_b32 exec_lo, exec_lo, s0
	v_add_nc_u32_e32 v0, 24, v0
	s_delay_alu instid0(VALU_DEP_1) | instskip(NEXT) | instid1(VALU_DEP_1)
	v_ashrrev_i32_e32 v1, 31, v0
	v_cmp_gt_i64_e32 vcc_lo, s[10:11], v[0:1]
	s_and_b32 exec_lo, exec_lo, vcc_lo
	s_cbranch_execz .LBB17_121
; %bb.120:
	v_mul_u64_e32 v[0:1], s[12:13], v[0:1]
	s_delay_alu instid0(VALU_DEP_1)
	v_lshl_add_u64 v[0:1], v[0:1], 1, v[2:3]
	global_load_u16 v0, v[0:1], off
	s_wait_loadcnt 0x0
	ds_store_b16 v16, v0 offset:7392
.LBB17_121:
	s_wait_xcnt 0x0
	s_or_b32 exec_lo, exec_lo, s7
	v_lshl_add_u64 v[0:1], s[2:3], 1, v[6:7]
	s_wait_storecnt_dscnt 0x0
	s_barrier_signal -1
	s_barrier_wait -1
	s_and_saveexec_b32 s0, s4
	s_cbranch_execnz .LBB17_146
; %bb.122:
	s_or_b32 exec_lo, exec_lo, s0
	s_and_saveexec_b32 s0, s1
	s_cbranch_execnz .LBB17_147
.LBB17_123:
	s_or_b32 exec_lo, exec_lo, s0
	s_and_saveexec_b32 s0, s5
	s_cbranch_execnz .LBB17_148
.LBB17_124:
	s_or_b32 exec_lo, exec_lo, s0
	s_and_saveexec_b32 s0, s6
	s_cbranch_execz .LBB17_126
.LBB17_125:
	v_mul_u64_e32 v[2:3], s[10:11], v[12:13]
	ds_load_u16 v4, v18 offset:4320
	v_lshl_add_u64 v[0:1], v[2:3], 1, v[0:1]
	s_wait_dscnt 0x0
	global_store_b16 v[0:1], v4, off
.LBB17_126:
	s_endpgm
.LBB17_127:
                                        ; implicit-def: $sgpr16_sgpr17
	s_branch .LBB17_2
.LBB17_128:
	v_mul_u64_e32 v[16:17], s[10:11], v[4:5]
	ds_load_u16 v1, v18 offset:4224
	v_lshl_add_u64 v[16:17], v[16:17], 1, v[14:15]
	s_wait_dscnt 0x0
	global_store_b16 v[16:17], v1, off
	s_wait_xcnt 0x0
	s_or_b32 exec_lo, exec_lo, s2
	s_and_saveexec_b32 s2, s1
	s_cbranch_execz .LBB17_33
.LBB17_129:
	v_mul_u64_e32 v[16:17], s[10:11], v[8:9]
	ds_load_u16 v1, v18 offset:4256
	v_lshl_add_u64 v[16:17], v[16:17], 1, v[14:15]
	s_wait_dscnt 0x0
	global_store_b16 v[16:17], v1, off
	s_wait_xcnt 0x0
	s_or_b32 exec_lo, exec_lo, s2
	s_and_saveexec_b32 s2, s5
	s_cbranch_execz .LBB17_34
.LBB17_130:
	v_mul_u64_e32 v[16:17], s[10:11], v[10:11]
	ds_load_u16 v1, v18 offset:4288
	v_lshl_add_u64 v[16:17], v[16:17], 1, v[14:15]
	s_wait_dscnt 0x0
	global_store_b16 v[16:17], v1, off
	s_wait_xcnt 0x0
	s_or_b32 exec_lo, exec_lo, s2
	s_and_saveexec_b32 s2, s6
	s_cbranch_execnz .LBB17_35
	s_branch .LBB17_36
.LBB17_131:
	v_mul_u64_e32 v[16:17], s[10:11], v[4:5]
	ds_load_u16 v1, v18
	v_lshl_add_u64 v[16:17], v[16:17], 1, v[14:15]
	s_wait_dscnt 0x0
	global_store_b16 v[16:17], v1, off
	s_wait_xcnt 0x0
	s_or_b32 exec_lo, exec_lo, s2
	s_and_saveexec_b32 s2, s1
	s_cbranch_execz .LBB17_48
.LBB17_132:
	v_mul_u64_e32 v[16:17], s[10:11], v[8:9]
	ds_load_u16 v1, v18 offset:32
	v_lshl_add_u64 v[16:17], v[16:17], 1, v[14:15]
	s_wait_dscnt 0x0
	global_store_b16 v[16:17], v1, off
	s_wait_xcnt 0x0
	s_or_b32 exec_lo, exec_lo, s2
	s_and_saveexec_b32 s2, s5
	s_cbranch_execz .LBB17_49
.LBB17_133:
	v_mul_u64_e32 v[16:17], s[10:11], v[10:11]
	ds_load_u16 v1, v18 offset:64
	v_lshl_add_u64 v[16:17], v[16:17], 1, v[14:15]
	s_wait_dscnt 0x0
	global_store_b16 v[16:17], v1, off
	s_wait_xcnt 0x0
	s_or_b32 exec_lo, exec_lo, s2
	s_and_saveexec_b32 s2, s6
	s_cbranch_execnz .LBB17_50
	s_branch .LBB17_51
.LBB17_134:
	v_mul_u64_e32 v[16:17], s[10:11], v[4:5]
	ds_load_u16 v1, v18 offset:4224
	v_lshl_add_u64 v[16:17], v[16:17], 1, v[14:15]
	s_wait_dscnt 0x0
	global_store_b16 v[16:17], v1, off
	s_wait_xcnt 0x0
	s_or_b32 exec_lo, exec_lo, s2
	s_and_saveexec_b32 s2, s1
	s_cbranch_execz .LBB17_63
.LBB17_135:
	v_mul_u64_e32 v[16:17], s[10:11], v[8:9]
	ds_load_u16 v1, v18 offset:4256
	v_lshl_add_u64 v[16:17], v[16:17], 1, v[14:15]
	s_wait_dscnt 0x0
	global_store_b16 v[16:17], v1, off
	s_wait_xcnt 0x0
	s_or_b32 exec_lo, exec_lo, s2
	s_and_saveexec_b32 s2, s5
	s_cbranch_execz .LBB17_64
.LBB17_136:
	v_mul_u64_e32 v[16:17], s[10:11], v[10:11]
	ds_load_u16 v1, v18 offset:4288
	v_lshl_add_u64 v[16:17], v[16:17], 1, v[14:15]
	s_wait_dscnt 0x0
	global_store_b16 v[16:17], v1, off
	s_wait_xcnt 0x0
	s_or_b32 exec_lo, exec_lo, s2
	s_and_saveexec_b32 s2, s6
	s_cbranch_execnz .LBB17_65
	s_branch .LBB17_66
.LBB17_137:
	v_mul_u64_e32 v[16:17], s[10:11], v[4:5]
	ds_load_u16 v1, v18
	v_lshl_add_u64 v[16:17], v[16:17], 1, v[14:15]
	s_wait_dscnt 0x0
	global_store_b16 v[16:17], v1, off
	s_wait_xcnt 0x0
	s_or_b32 exec_lo, exec_lo, s2
	s_and_saveexec_b32 s2, s1
	s_cbranch_execz .LBB17_78
.LBB17_138:
	v_mul_u64_e32 v[16:17], s[10:11], v[8:9]
	ds_load_u16 v1, v18 offset:32
	v_lshl_add_u64 v[16:17], v[16:17], 1, v[14:15]
	s_wait_dscnt 0x0
	global_store_b16 v[16:17], v1, off
	s_wait_xcnt 0x0
	s_or_b32 exec_lo, exec_lo, s2
	s_and_saveexec_b32 s2, s5
	s_cbranch_execz .LBB17_79
.LBB17_139:
	v_mul_u64_e32 v[16:17], s[10:11], v[10:11]
	ds_load_u16 v1, v18 offset:64
	v_lshl_add_u64 v[16:17], v[16:17], 1, v[14:15]
	s_wait_dscnt 0x0
	global_store_b16 v[16:17], v1, off
	s_wait_xcnt 0x0
	s_or_b32 exec_lo, exec_lo, s2
	s_and_saveexec_b32 s2, s6
	s_cbranch_execnz .LBB17_80
	s_branch .LBB17_81
.LBB17_140:
	v_mul_u64_e32 v[16:17], s[10:11], v[4:5]
	ds_load_u16 v1, v18 offset:4224
	v_lshl_add_u64 v[16:17], v[16:17], 1, v[14:15]
	s_wait_dscnt 0x0
	global_store_b16 v[16:17], v1, off
	s_wait_xcnt 0x0
	s_or_b32 exec_lo, exec_lo, s2
	s_and_saveexec_b32 s2, s1
	s_cbranch_execz .LBB17_93
.LBB17_141:
	v_mul_u64_e32 v[16:17], s[10:11], v[8:9]
	ds_load_u16 v1, v18 offset:4256
	v_lshl_add_u64 v[16:17], v[16:17], 1, v[14:15]
	s_wait_dscnt 0x0
	global_store_b16 v[16:17], v1, off
	s_wait_xcnt 0x0
	s_or_b32 exec_lo, exec_lo, s2
	s_and_saveexec_b32 s2, s5
	s_cbranch_execz .LBB17_94
.LBB17_142:
	v_mul_u64_e32 v[16:17], s[10:11], v[10:11]
	ds_load_u16 v1, v18 offset:4288
	v_lshl_add_u64 v[16:17], v[16:17], 1, v[14:15]
	s_wait_dscnt 0x0
	global_store_b16 v[16:17], v1, off
	s_wait_xcnt 0x0
	s_or_b32 exec_lo, exec_lo, s2
	s_and_saveexec_b32 s2, s6
	s_cbranch_execnz .LBB17_95
	s_branch .LBB17_96
.LBB17_143:
	v_mul_u64_e32 v[16:17], s[10:11], v[4:5]
	ds_load_u16 v1, v18
	v_lshl_add_u64 v[16:17], v[16:17], 1, v[14:15]
	s_wait_dscnt 0x0
	global_store_b16 v[16:17], v1, off
	s_wait_xcnt 0x0
	s_or_b32 exec_lo, exec_lo, s2
	s_and_saveexec_b32 s2, s1
	s_cbranch_execz .LBB17_108
.LBB17_144:
	v_mul_u64_e32 v[16:17], s[10:11], v[8:9]
	ds_load_u16 v1, v18 offset:32
	v_lshl_add_u64 v[16:17], v[16:17], 1, v[14:15]
	s_wait_dscnt 0x0
	global_store_b16 v[16:17], v1, off
	s_wait_xcnt 0x0
	s_or_b32 exec_lo, exec_lo, s2
	s_and_saveexec_b32 s2, s5
	s_cbranch_execz .LBB17_109
.LBB17_145:
	v_mul_u64_e32 v[16:17], s[10:11], v[10:11]
	ds_load_u16 v1, v18 offset:64
	v_lshl_add_u64 v[16:17], v[16:17], 1, v[14:15]
	s_wait_dscnt 0x0
	global_store_b16 v[16:17], v1, off
	s_wait_xcnt 0x0
	s_or_b32 exec_lo, exec_lo, s2
	s_and_saveexec_b32 s2, s6
	s_cbranch_execnz .LBB17_110
	s_branch .LBB17_111
.LBB17_146:
	v_mul_u64_e32 v[2:3], s[10:11], v[4:5]
	ds_load_u16 v4, v18 offset:4224
	v_lshl_add_u64 v[2:3], v[2:3], 1, v[0:1]
	s_wait_dscnt 0x0
	global_store_b16 v[2:3], v4, off
	s_wait_xcnt 0x0
	s_or_b32 exec_lo, exec_lo, s0
	s_and_saveexec_b32 s0, s1
	s_cbranch_execz .LBB17_123
.LBB17_147:
	v_mul_u64_e32 v[2:3], s[10:11], v[8:9]
	ds_load_u16 v4, v18 offset:4256
	v_lshl_add_u64 v[2:3], v[2:3], 1, v[0:1]
	s_wait_dscnt 0x0
	global_store_b16 v[2:3], v4, off
	s_wait_xcnt 0x0
	s_or_b32 exec_lo, exec_lo, s0
	s_and_saveexec_b32 s0, s5
	s_cbranch_execz .LBB17_124
.LBB17_148:
	v_mul_u64_e32 v[2:3], s[10:11], v[10:11]
	ds_load_u16 v4, v18 offset:4288
	v_lshl_add_u64 v[2:3], v[2:3], 1, v[0:1]
	s_wait_dscnt 0x0
	global_store_b16 v[2:3], v4, off
	s_wait_xcnt 0x0
	s_or_b32 exec_lo, exec_lo, s0
	s_and_saveexec_b32 s0, s6
	s_cbranch_execnz .LBB17_125
	s_branch .LBB17_126
	.section	.rodata,"a",@progbits
	.p2align	6, 0x0
	.amdhsa_kernel _ZL20cpy_scalar_transposeI6__halfEvPKcPclllllllllllllll
		.amdhsa_group_segment_fixed_size 8448
		.amdhsa_private_segment_fixed_size 0
		.amdhsa_kernarg_size 136
		.amdhsa_user_sgpr_count 2
		.amdhsa_user_sgpr_dispatch_ptr 0
		.amdhsa_user_sgpr_queue_ptr 0
		.amdhsa_user_sgpr_kernarg_segment_ptr 1
		.amdhsa_user_sgpr_dispatch_id 0
		.amdhsa_user_sgpr_kernarg_preload_length 0
		.amdhsa_user_sgpr_kernarg_preload_offset 0
		.amdhsa_user_sgpr_private_segment_size 0
		.amdhsa_wavefront_size32 1
		.amdhsa_uses_dynamic_stack 0
		.amdhsa_enable_private_segment 0
		.amdhsa_system_sgpr_workgroup_id_x 1
		.amdhsa_system_sgpr_workgroup_id_y 1
		.amdhsa_system_sgpr_workgroup_id_z 1
		.amdhsa_system_sgpr_workgroup_info 0
		.amdhsa_system_vgpr_workitem_id 1
		.amdhsa_next_free_vgpr 21
		.amdhsa_next_free_sgpr 30
		.amdhsa_named_barrier_count 0
		.amdhsa_reserve_vcc 1
		.amdhsa_float_round_mode_32 0
		.amdhsa_float_round_mode_16_64 0
		.amdhsa_float_denorm_mode_32 3
		.amdhsa_float_denorm_mode_16_64 3
		.amdhsa_fp16_overflow 0
		.amdhsa_memory_ordered 1
		.amdhsa_forward_progress 1
		.amdhsa_inst_pref_size 48
		.amdhsa_round_robin_scheduling 0
		.amdhsa_exception_fp_ieee_invalid_op 0
		.amdhsa_exception_fp_denorm_src 0
		.amdhsa_exception_fp_ieee_div_zero 0
		.amdhsa_exception_fp_ieee_overflow 0
		.amdhsa_exception_fp_ieee_underflow 0
		.amdhsa_exception_fp_ieee_inexact 0
		.amdhsa_exception_int_div_zero 0
	.end_amdhsa_kernel
	.section	.text._ZL20cpy_scalar_transposeI6__halfEvPKcPclllllllllllllll,"axG",@progbits,_ZL20cpy_scalar_transposeI6__halfEvPKcPclllllllllllllll,comdat
.Lfunc_end17:
	.size	_ZL20cpy_scalar_transposeI6__halfEvPKcPclllllllllllllll, .Lfunc_end17-_ZL20cpy_scalar_transposeI6__halfEvPKcPclllllllllllllll
                                        ; -- End function
	.set _ZL20cpy_scalar_transposeI6__halfEvPKcPclllllllllllllll.num_vgpr, 21
	.set _ZL20cpy_scalar_transposeI6__halfEvPKcPclllllllllllllll.num_agpr, 0
	.set _ZL20cpy_scalar_transposeI6__halfEvPKcPclllllllllllllll.numbered_sgpr, 30
	.set _ZL20cpy_scalar_transposeI6__halfEvPKcPclllllllllllllll.num_named_barrier, 0
	.set _ZL20cpy_scalar_transposeI6__halfEvPKcPclllllllllllllll.private_seg_size, 0
	.set _ZL20cpy_scalar_transposeI6__halfEvPKcPclllllllllllllll.uses_vcc, 1
	.set _ZL20cpy_scalar_transposeI6__halfEvPKcPclllllllllllllll.uses_flat_scratch, 0
	.set _ZL20cpy_scalar_transposeI6__halfEvPKcPclllllllllllllll.has_dyn_sized_stack, 0
	.set _ZL20cpy_scalar_transposeI6__halfEvPKcPclllllllllllllll.has_recursion, 0
	.set _ZL20cpy_scalar_transposeI6__halfEvPKcPclllllllllllllll.has_indirect_call, 0
	.section	.AMDGPU.csdata,"",@progbits
; Kernel info:
; codeLenInByte = 6020
; TotalNumSgprs: 32
; NumVgprs: 21
; ScratchSize: 0
; MemoryBound: 0
; FloatMode: 240
; IeeeMode: 1
; LDSByteSize: 8448 bytes/workgroup (compile time only)
; SGPRBlocks: 0
; VGPRBlocks: 1
; NumSGPRsForWavesPerEU: 32
; NumVGPRsForWavesPerEU: 21
; NamedBarCnt: 0
; Occupancy: 16
; WaveLimiterHint : 0
; COMPUTE_PGM_RSRC2:SCRATCH_EN: 0
; COMPUTE_PGM_RSRC2:USER_SGPR: 2
; COMPUTE_PGM_RSRC2:TRAP_HANDLER: 0
; COMPUTE_PGM_RSRC2:TGID_X_EN: 1
; COMPUTE_PGM_RSRC2:TGID_Y_EN: 1
; COMPUTE_PGM_RSRC2:TGID_Z_EN: 1
; COMPUTE_PGM_RSRC2:TIDIG_COMP_CNT: 1
	.section	.text._ZL10cpy_scalarIXadL_ZL12cpy_1_scalarIf6__halfEvPKcPcEEEvS3_S4_lllllllllllllll,"axG",@progbits,_ZL10cpy_scalarIXadL_ZL12cpy_1_scalarIf6__halfEvPKcPcEEEvS3_S4_lllllllllllllll,comdat
	.globl	_ZL10cpy_scalarIXadL_ZL12cpy_1_scalarIf6__halfEvPKcPcEEEvS3_S4_lllllllllllllll ; -- Begin function _ZL10cpy_scalarIXadL_ZL12cpy_1_scalarIf6__halfEvPKcPcEEEvS3_S4_lllllllllllllll
	.p2align	8
	.type	_ZL10cpy_scalarIXadL_ZL12cpy_1_scalarIf6__halfEvPKcPcEEEvS3_S4_lllllllllllllll,@function
_ZL10cpy_scalarIXadL_ZL12cpy_1_scalarIf6__halfEvPKcPcEEEvS3_S4_lllllllllllllll: ; @_ZL10cpy_scalarIXadL_ZL12cpy_1_scalarIf6__halfEvPKcPcEEEvS3_S4_lllllllllllllll
; %bb.0:
	s_load_b32 s2, s[0:1], 0x94
	s_bfe_u32 s4, ttmp6, 0x4000c
	v_mov_b32_e32 v2, 0
	s_add_co_i32 s21, s4, 1
	s_load_b512 s[4:19], s[0:1], 0x0
	s_and_b32 s3, ttmp6, 15
	s_mul_i32 s21, ttmp9, s21
	s_getreg_b32 s20, hwreg(HW_REG_IB_STS2, 6, 4)
	v_mov_b32_e32 v1, v2
	s_add_co_i32 s3, s3, s21
	s_wait_kmcnt 0x0
	s_and_b32 s2, s2, 0xffff
	s_cmp_eq_u32 s20, 0
	s_cselect_b32 s3, ttmp9, s3
	s_delay_alu instid0(SALU_CYCLE_1) | instskip(SKIP_1) | instid1(VALU_DEP_1)
	v_mad_nc_u64_u32 v[4:5], s2, s3, v[0:1]
	s_mov_b32 s2, exec_lo
	v_cmpx_gt_i64_e64 s[8:9], v[4:5]
	s_cbranch_execz .LBB18_26
; %bb.1:
	s_mul_u64 s[8:9], s[12:13], s[10:11]
                                        ; implicit-def: $vgpr0_vgpr1
	s_mov_b32 s2, exec_lo
	s_mul_u64 s[12:13], s[8:9], s[14:15]
	s_delay_alu instid0(SALU_CYCLE_1) | instskip(NEXT) | instid1(VALU_DEP_1)
	v_dual_ashrrev_i32 v8, 31, v5 :: v_dual_bitop2_b32 v3, s13, v5 bitop3:0x54
	v_cmpx_ne_u64_e32 0, v[2:3]
	s_xor_b32 s3, exec_lo, s2
	s_cbranch_execz .LBB18_3
; %bb.2:
	s_ashr_i32 s14, s13, 31
	s_mov_b32 s29, 0
	s_mov_b32 s15, s14
	v_dual_mov_b32 v9, v8 :: v_dual_mov_b32 v3, 0
	s_add_nc_u64 s[20:21], s[12:13], s[14:15]
	s_delay_alu instid0(SALU_CYCLE_1) | instskip(NEXT) | instid1(VALU_DEP_1)
	s_xor_b64 s[20:21], s[20:21], s[14:15]
	v_add_nc_u64_e32 v[0:1], v[4:5], v[8:9]
	s_cvt_f32_u32 s2, s20
	s_cvt_f32_u32 s15, s21
	s_sub_nc_u64 s[24:25], 0, s[20:21]
	v_dual_mov_b32 v7, v3 :: v_dual_mov_b32 v15, v3
	s_delay_alu instid0(SALU_CYCLE_1) | instskip(NEXT) | instid1(VALU_DEP_2)
	s_fmamk_f32 s2, s15, 0x4f800000, s2
	v_xor_b32_e32 v2, v0, v8
	v_xor_b32_e32 v6, v1, v8
	s_delay_alu instid0(SALU_CYCLE_1) | instskip(NEXT) | instid1(TRANS32_DEP_1)
	v_s_rcp_f32 s2, s2
	s_mul_f32 s2, s2, 0x5f7ffffc
	s_delay_alu instid0(SALU_CYCLE_3) | instskip(NEXT) | instid1(SALU_CYCLE_3)
	s_mul_f32 s15, s2, 0x2f800000
	s_trunc_f32 s15, s15
	s_delay_alu instid0(SALU_CYCLE_3) | instskip(SKIP_1) | instid1(SALU_CYCLE_2)
	s_fmamk_f32 s2, s15, 0xcf800000, s2
	s_cvt_u32_f32 s23, s15
	s_cvt_u32_f32 s22, s2
	s_delay_alu instid0(SALU_CYCLE_3) | instskip(NEXT) | instid1(SALU_CYCLE_1)
	s_mul_u64 s[26:27], s[24:25], s[22:23]
	s_mul_hi_u32 s31, s22, s27
	s_mul_i32 s30, s22, s27
	s_mul_hi_u32 s28, s22, s26
	s_mul_i32 s15, s23, s26
	s_add_nc_u64 s[30:31], s[28:29], s[30:31]
	s_mul_hi_u32 s2, s23, s26
	s_mul_hi_u32 s33, s23, s27
	s_add_co_u32 s15, s30, s15
	s_add_co_ci_u32 s28, s31, s2
	s_mul_i32 s26, s23, s27
	s_add_co_ci_u32 s27, s33, 0
	s_delay_alu instid0(SALU_CYCLE_1) | instskip(NEXT) | instid1(SALU_CYCLE_1)
	s_add_nc_u64 s[26:27], s[28:29], s[26:27]
	s_add_co_u32 s22, s22, s26
	s_cselect_b32 s2, -1, 0
	s_delay_alu instid0(SALU_CYCLE_1) | instskip(SKIP_1) | instid1(SALU_CYCLE_1)
	s_cmp_lg_u32 s2, 0
	s_add_co_ci_u32 s23, s23, s27
	s_mul_u64 s[24:25], s[24:25], s[22:23]
	s_delay_alu instid0(SALU_CYCLE_1)
	s_mul_hi_u32 s27, s22, s25
	s_mul_i32 s26, s22, s25
	s_mul_hi_u32 s28, s22, s24
	s_mul_i32 s15, s23, s24
	s_add_nc_u64 s[26:27], s[28:29], s[26:27]
	s_mul_hi_u32 s2, s23, s24
	s_mul_hi_u32 s30, s23, s25
	s_add_co_u32 s15, s26, s15
	s_add_co_ci_u32 s28, s27, s2
	s_mul_i32 s24, s23, s25
	s_add_co_ci_u32 s25, s30, 0
	s_delay_alu instid0(SALU_CYCLE_1) | instskip(NEXT) | instid1(SALU_CYCLE_1)
	s_add_nc_u64 s[24:25], s[28:29], s[24:25]
	s_add_co_u32 s2, s22, s24
	s_cselect_b32 s15, -1, 0
	v_nop
	v_mul_hi_u32 v14, v2, s2
	s_cmp_lg_u32 s15, 0
	s_add_co_ci_u32 s28, s23, s25
	s_mov_b64 s[22:23], 0xffffffff
	v_mul_u64_e32 v[10:11], s[28:29], v[2:3]
	s_and_b64 s[22:23], s[2:3], s[22:23]
	v_mul_u64_e32 v[12:13], s[28:29], v[6:7]
	v_mul_u64_e32 v[0:1], s[22:23], v[6:7]
	s_delay_alu instid0(VALU_DEP_3) | instskip(NEXT) | instid1(VALU_DEP_1)
	v_add_nc_u64_e32 v[10:11], v[14:15], v[10:11]
	v_add_co_u32 v0, vcc_lo, v10, v0
	s_delay_alu instid0(VALU_DEP_2) | instskip(SKIP_1) | instid1(VALU_DEP_1)
	v_add_co_ci_u32_e32 v14, vcc_lo, v11, v1, vcc_lo
	v_add_co_ci_u32_e32 v13, vcc_lo, 0, v13, vcc_lo
	v_add_nc_u64_e32 v[0:1], v[14:15], v[12:13]
	s_delay_alu instid0(VALU_DEP_1) | instskip(NEXT) | instid1(VALU_DEP_1)
	v_mul_u64_e32 v[10:11], s[20:21], v[0:1]
	v_sub_nc_u32_e32 v3, v6, v11
	s_delay_alu instid0(VALU_DEP_2) | instskip(NEXT) | instid1(VALU_DEP_1)
	v_sub_co_u32 v2, vcc_lo, v2, v10
	v_sub_co_ci_u32_e64 v9, null, v6, v11, vcc_lo
	s_delay_alu instid0(VALU_DEP_3) | instskip(NEXT) | instid1(VALU_DEP_3)
	v_subrev_co_ci_u32_e64 v3, null, s21, v3, vcc_lo
	v_sub_co_u32 v7, s2, v2, s20
	s_delay_alu instid0(VALU_DEP_1) | instskip(NEXT) | instid1(VALU_DEP_2)
	v_subrev_co_ci_u32_e64 v3, null, 0, v3, s2
	v_cmp_le_u32_e32 vcc_lo, s20, v7
	v_cndmask_b32_e64 v6, 0, -1, vcc_lo
	s_delay_alu instid0(VALU_DEP_3)
	v_cmp_le_u32_e32 vcc_lo, s21, v3
	v_cndmask_b32_e64 v7, 0, -1, vcc_lo
	v_cmp_le_u32_e32 vcc_lo, s20, v2
	v_cndmask_b32_e64 v10, 0, -1, vcc_lo
	;; [unrolled: 2-line block ×3, first 2 shown]
	v_cmp_eq_u32_e32 vcc_lo, s21, v3
	v_add_nc_u64_e32 v[2:3], 2, v[0:1]
	v_cndmask_b32_e32 v12, v7, v6, vcc_lo
	v_cmp_eq_u32_e32 vcc_lo, s21, v9
	v_add_nc_u64_e32 v[6:7], 1, v[0:1]
	v_cndmask_b32_e32 v9, v11, v10, vcc_lo
	s_delay_alu instid0(VALU_DEP_4) | instskip(NEXT) | instid1(VALU_DEP_3)
	v_cmp_ne_u32_e32 vcc_lo, 0, v12
	v_dual_cndmask_b32 v3, v7, v3 :: v_dual_cndmask_b32 v6, v6, v2
	v_xor_b32_e32 v2, s14, v8
	s_delay_alu instid0(VALU_DEP_4) | instskip(NEXT) | instid1(VALU_DEP_1)
	v_cmp_ne_u32_e64 s2, 0, v9
	v_dual_cndmask_b32 v1, v1, v3, s2 :: v_dual_cndmask_b32 v0, v0, v6, s2
	s_delay_alu instid0(VALU_DEP_1) | instskip(NEXT) | instid1(VALU_DEP_2)
	v_dual_mov_b32 v3, v2 :: v_dual_bitop2_b32 v1, v1, v2 bitop3:0x14
	v_xor_b32_e32 v0, v0, v2
	s_delay_alu instid0(VALU_DEP_1)
	v_sub_nc_u64_e32 v[0:1], v[0:1], v[2:3]
.LBB18_3:
	s_and_not1_saveexec_b32 s2, s3
	s_cbranch_execz .LBB18_5
; %bb.4:
	v_cvt_f32_u32_e32 v0, s12
	s_sub_co_i32 s3, 0, s12
	s_delay_alu instid0(VALU_DEP_1) | instskip(SKIP_1) | instid1(TRANS32_DEP_1)
	v_rcp_iflag_f32_e32 v0, v0
	v_nop
	v_mul_f32_e32 v0, 0x4f7ffffe, v0
	s_delay_alu instid0(VALU_DEP_1) | instskip(NEXT) | instid1(VALU_DEP_1)
	v_cvt_u32_f32_e32 v0, v0
	v_mul_lo_u32 v1, s3, v0
	s_delay_alu instid0(VALU_DEP_1) | instskip(NEXT) | instid1(VALU_DEP_1)
	v_mul_hi_u32 v1, v0, v1
	v_add_nc_u32_e32 v0, v0, v1
	s_delay_alu instid0(VALU_DEP_1) | instskip(NEXT) | instid1(VALU_DEP_1)
	v_mul_hi_u32 v0, v4, v0
	v_mul_lo_u32 v1, v0, s12
	s_delay_alu instid0(VALU_DEP_1) | instskip(NEXT) | instid1(VALU_DEP_1)
	v_dual_add_nc_u32 v2, 1, v0 :: v_dual_sub_nc_u32 v1, v4, v1
	v_subrev_nc_u32_e32 v3, s12, v1
	v_cmp_le_u32_e32 vcc_lo, s12, v1
	s_delay_alu instid0(VALU_DEP_2) | instskip(NEXT) | instid1(VALU_DEP_1)
	v_dual_cndmask_b32 v1, v1, v3 :: v_dual_cndmask_b32 v0, v0, v2
	v_cmp_le_u32_e32 vcc_lo, s12, v1
	s_delay_alu instid0(VALU_DEP_2) | instskip(NEXT) | instid1(VALU_DEP_1)
	v_dual_mov_b32 v1, 0 :: v_dual_add_nc_u32 v2, 1, v0
	v_cndmask_b32_e32 v0, v0, v2, vcc_lo
.LBB18_5:
	s_or_b32 exec_lo, exec_lo, s2
	s_delay_alu instid0(VALU_DEP_1) | instskip(SKIP_2) | instid1(VALU_DEP_2)
	v_mul_u64_e32 v[2:3], s[12:13], v[0:1]
	s_mov_b32 s2, exec_lo
	v_mov_b32_e32 v10, 0
	v_sub_nc_u64_e32 v[6:7], v[4:5], v[2:3]
                                        ; implicit-def: $vgpr2_vgpr3
	s_delay_alu instid0(VALU_DEP_1) | instskip(NEXT) | instid1(VALU_DEP_1)
	v_or_b32_e32 v11, s9, v7
	v_cmpx_ne_u64_e32 0, v[10:11]
	s_xor_b32 s3, exec_lo, s2
	s_cbranch_execz .LBB18_7
; %bb.6:
	s_ashr_i32 s12, s9, 31
	s_mov_b32 s27, 0
	s_mov_b32 s13, s12
	v_dual_mov_b32 v15, v10 :: v_dual_ashrrev_i32 v2, 31, v7
	s_add_nc_u64 s[14:15], s[8:9], s[12:13]
	v_dual_mov_b32 v23, v10 :: v_dual_mov_b32 v11, v10
	s_xor_b64 s[14:15], s[14:15], s[12:13]
	s_delay_alu instid0(VALU_DEP_2) | instskip(SKIP_3) | instid1(VALU_DEP_1)
	v_mov_b32_e32 v3, v2
	s_cvt_f32_u32 s2, s14
	s_cvt_f32_u32 s13, s15
	s_sub_nc_u64 s[22:23], 0, s[14:15]
	v_add_nc_u64_e32 v[12:13], v[6:7], v[2:3]
	s_delay_alu instid0(SALU_CYCLE_1) | instskip(SKIP_1) | instid1(SALU_CYCLE_2)
	s_fmamk_f32 s2, s13, 0x4f800000, s2
	v_mov_b32_e32 v17, v10
	v_s_rcp_f32 s2, s2
	s_delay_alu instid0(VALU_DEP_2) | instskip(NEXT) | instid1(VALU_DEP_3)
	v_xor_b32_e32 v14, v12, v2
	v_xor_b32_e32 v16, v13, v2
	;; [unrolled: 1-line block ×3, first 2 shown]
	s_delay_alu instid0(TRANS32_DEP_1) | instskip(NEXT) | instid1(SALU_CYCLE_3)
	s_mul_f32 s2, s2, 0x5f7ffffc
	s_mul_f32 s13, s2, 0x2f800000
	s_delay_alu instid0(SALU_CYCLE_3) | instskip(NEXT) | instid1(SALU_CYCLE_3)
	s_trunc_f32 s13, s13
	s_fmamk_f32 s2, s13, 0xcf800000, s2
	s_cvt_u32_f32 s21, s13
	s_delay_alu instid0(SALU_CYCLE_2) | instskip(NEXT) | instid1(SALU_CYCLE_3)
	s_cvt_u32_f32 s20, s2
	s_mul_u64 s[24:25], s[22:23], s[20:21]
	s_delay_alu instid0(SALU_CYCLE_1)
	s_mul_hi_u32 s29, s20, s25
	s_mul_i32 s28, s20, s25
	s_mul_hi_u32 s26, s20, s24
	s_mul_i32 s13, s21, s24
	s_add_nc_u64 s[28:29], s[26:27], s[28:29]
	s_mul_hi_u32 s2, s21, s24
	s_mul_hi_u32 s30, s21, s25
	s_add_co_u32 s13, s28, s13
	s_add_co_ci_u32 s26, s29, s2
	s_mul_i32 s24, s21, s25
	s_add_co_ci_u32 s25, s30, 0
	s_delay_alu instid0(SALU_CYCLE_1) | instskip(NEXT) | instid1(SALU_CYCLE_1)
	s_add_nc_u64 s[24:25], s[26:27], s[24:25]
	s_add_co_u32 s20, s20, s24
	s_cselect_b32 s2, -1, 0
	s_delay_alu instid0(SALU_CYCLE_1) | instskip(SKIP_1) | instid1(SALU_CYCLE_1)
	s_cmp_lg_u32 s2, 0
	s_add_co_ci_u32 s21, s21, s25
	s_mul_u64 s[22:23], s[22:23], s[20:21]
	s_delay_alu instid0(SALU_CYCLE_1)
	s_mul_hi_u32 s25, s20, s23
	s_mul_i32 s24, s20, s23
	s_mul_hi_u32 s26, s20, s22
	s_mul_i32 s13, s21, s22
	s_add_nc_u64 s[24:25], s[26:27], s[24:25]
	s_mul_hi_u32 s2, s21, s22
	s_mul_hi_u32 s28, s21, s23
	s_add_co_u32 s13, s24, s13
	s_add_co_ci_u32 s26, s25, s2
	s_mul_i32 s22, s21, s23
	s_add_co_ci_u32 s23, s28, 0
	s_delay_alu instid0(SALU_CYCLE_1) | instskip(NEXT) | instid1(SALU_CYCLE_1)
	s_add_nc_u64 s[22:23], s[26:27], s[22:23]
	s_add_co_u32 s2, s20, s22
	s_cselect_b32 s13, -1, 0
	v_mul_hi_u32 v22, v14, s2
	s_cmp_lg_u32 s13, 0
	s_add_co_ci_u32 s26, s21, s23
	s_mov_b64 s[20:21], 0xffffffff
	v_mul_u64_e32 v[18:19], s[26:27], v[14:15]
	s_and_b64 s[20:21], s[2:3], s[20:21]
	v_mul_u64_e32 v[20:21], s[26:27], v[16:17]
	v_mul_u64_e32 v[12:13], s[20:21], v[16:17]
	s_delay_alu instid0(VALU_DEP_3) | instskip(NEXT) | instid1(VALU_DEP_1)
	v_add_nc_u64_e32 v[18:19], v[22:23], v[18:19]
	v_add_co_u32 v3, vcc_lo, v18, v12
	s_delay_alu instid0(VALU_DEP_2) | instskip(SKIP_1) | instid1(VALU_DEP_1)
	v_add_co_ci_u32_e32 v10, vcc_lo, v19, v13, vcc_lo
	v_add_co_ci_u32_e32 v21, vcc_lo, 0, v21, vcc_lo
	v_add_nc_u64_e32 v[10:11], v[10:11], v[20:21]
	s_delay_alu instid0(VALU_DEP_1) | instskip(NEXT) | instid1(VALU_DEP_1)
	v_mul_u64_e32 v[12:13], s[14:15], v[10:11]
	v_sub_co_u32 v9, vcc_lo, v14, v12
	v_add_nc_u64_e32 v[14:15], 1, v[10:11]
	s_delay_alu instid0(VALU_DEP_3) | instskip(SKIP_1) | instid1(VALU_DEP_4)
	v_sub_nc_u32_e32 v3, v16, v13
	v_sub_co_ci_u32_e64 v16, null, v16, v13, vcc_lo
	v_sub_co_u32 v12, s2, v9, s14
	s_delay_alu instid0(VALU_DEP_3) | instskip(NEXT) | instid1(VALU_DEP_2)
	v_subrev_co_ci_u32_e64 v3, null, s15, v3, vcc_lo
	v_cmp_le_u32_e32 vcc_lo, s14, v12
	s_delay_alu instid0(VALU_DEP_2) | instskip(SKIP_1) | instid1(VALU_DEP_2)
	v_subrev_co_ci_u32_e64 v3, null, 0, v3, s2
	v_cndmask_b32_e64 v12, 0, -1, vcc_lo
	v_cmp_le_u32_e32 vcc_lo, s15, v3
	v_cndmask_b32_e64 v13, 0, -1, vcc_lo
	v_cmp_le_u32_e32 vcc_lo, s14, v9
	;; [unrolled: 2-line block ×3, first 2 shown]
	v_cndmask_b32_e64 v17, 0, -1, vcc_lo
	v_cmp_eq_u32_e32 vcc_lo, s15, v3
	v_cndmask_b32_e32 v3, v13, v12, vcc_lo
	v_cmp_eq_u32_e32 vcc_lo, s15, v16
	v_add_nc_u64_e32 v[12:13], 2, v[10:11]
	v_cndmask_b32_e32 v9, v17, v9, vcc_lo
	s_delay_alu instid0(VALU_DEP_4) | instskip(NEXT) | instid1(VALU_DEP_2)
	v_cmp_ne_u32_e32 vcc_lo, 0, v3
	v_cmp_ne_u32_e64 s2, 0, v9
	s_delay_alu instid0(VALU_DEP_4) | instskip(NEXT) | instid1(VALU_DEP_1)
	v_cndmask_b32_e32 v9, v14, v12, vcc_lo
	v_cndmask_b32_e64 v9, v10, v9, s2
	s_delay_alu instid0(VALU_DEP_1) | instskip(NEXT) | instid1(VALU_DEP_1)
	v_dual_cndmask_b32 v3, v15, v13, vcc_lo :: v_dual_bitop2_b32 v10, v9, v2 bitop3:0x14
	v_dual_cndmask_b32 v11, v11, v3, s2 :: v_dual_mov_b32 v3, v2
	s_delay_alu instid0(VALU_DEP_1) | instskip(NEXT) | instid1(VALU_DEP_1)
	v_xor_b32_e32 v11, v11, v2
	v_sub_nc_u64_e32 v[2:3], v[10:11], v[2:3]
.LBB18_7:
	s_and_not1_saveexec_b32 s2, s3
	s_cbranch_execz .LBB18_9
; %bb.8:
	v_cvt_f32_u32_e32 v2, s8
	s_sub_co_i32 s3, 0, s8
	s_delay_alu instid0(VALU_DEP_1) | instskip(SKIP_1) | instid1(TRANS32_DEP_1)
	v_rcp_iflag_f32_e32 v2, v2
	v_nop
	v_mul_f32_e32 v2, 0x4f7ffffe, v2
	s_delay_alu instid0(VALU_DEP_1) | instskip(NEXT) | instid1(VALU_DEP_1)
	v_cvt_u32_f32_e32 v2, v2
	v_mul_lo_u32 v3, s3, v2
	s_delay_alu instid0(VALU_DEP_1) | instskip(NEXT) | instid1(VALU_DEP_1)
	v_mul_hi_u32 v3, v2, v3
	v_add_nc_u32_e32 v2, v2, v3
	s_delay_alu instid0(VALU_DEP_1) | instskip(NEXT) | instid1(VALU_DEP_1)
	v_mul_hi_u32 v2, v6, v2
	v_mul_lo_u32 v3, v2, s8
	s_delay_alu instid0(VALU_DEP_1) | instskip(NEXT) | instid1(VALU_DEP_1)
	v_dual_add_nc_u32 v9, 1, v2 :: v_dual_sub_nc_u32 v3, v6, v3
	v_subrev_nc_u32_e32 v10, s8, v3
	v_cmp_le_u32_e32 vcc_lo, s8, v3
	s_delay_alu instid0(VALU_DEP_2) | instskip(NEXT) | instid1(VALU_DEP_1)
	v_dual_cndmask_b32 v3, v3, v10 :: v_dual_cndmask_b32 v2, v2, v9
	v_cmp_le_u32_e32 vcc_lo, s8, v3
	s_delay_alu instid0(VALU_DEP_2) | instskip(NEXT) | instid1(VALU_DEP_1)
	v_dual_add_nc_u32 v9, 1, v2 :: v_dual_mov_b32 v3, 0
	v_cndmask_b32_e32 v2, v2, v9, vcc_lo
.LBB18_9:
	s_or_b32 exec_lo, exec_lo, s2
	s_delay_alu instid0(VALU_DEP_1) | instskip(SKIP_2) | instid1(VALU_DEP_2)
	v_mul_u64_e32 v[10:11], s[8:9], v[2:3]
	s_mov_b32 s2, exec_lo
	v_mov_b32_e32 v12, 0
	v_sub_nc_u64_e32 v[6:7], v[6:7], v[10:11]
                                        ; implicit-def: $vgpr10_vgpr11
	s_delay_alu instid0(VALU_DEP_1) | instskip(NEXT) | instid1(VALU_DEP_1)
	v_or_b32_e32 v13, s11, v7
	v_cmpx_ne_u64_e32 0, v[12:13]
	s_xor_b32 s3, exec_lo, s2
	s_cbranch_execz .LBB18_11
; %bb.10:
	s_ashr_i32 s8, s11, 31
	s_mov_b32 s25, 0
	s_mov_b32 s9, s8
	v_dual_mov_b32 v17, v12 :: v_dual_ashrrev_i32 v10, 31, v7
	s_add_nc_u64 s[12:13], s[10:11], s[8:9]
	v_mov_b32_e32 v19, v12
	s_xor_b64 s[12:13], s[12:13], s[8:9]
	s_delay_alu instid0(VALU_DEP_2)
	v_mov_b32_e32 v11, v10
	s_cvt_f32_u32 s2, s12
	s_cvt_f32_u32 s9, s13
	s_sub_nc_u64 s[20:21], 0, s[12:13]
	v_mov_b32_e32 v25, v12
	v_add_nc_u64_e32 v[14:15], v[6:7], v[10:11]
	s_fmamk_f32 s2, s9, 0x4f800000, s2
	v_mov_b32_e32 v13, v12
	s_delay_alu instid0(SALU_CYCLE_2) | instskip(NEXT) | instid1(VALU_DEP_2)
	v_s_rcp_f32 s2, s2
	v_xor_b32_e32 v16, v14, v10
	s_delay_alu instid0(VALU_DEP_3) | instskip(SKIP_1) | instid1(TRANS32_DEP_1)
	v_xor_b32_e32 v18, v15, v10
	v_xor_b32_e32 v10, s8, v10
	s_mul_f32 s2, s2, 0x5f7ffffc
	s_delay_alu instid0(SALU_CYCLE_3) | instskip(NEXT) | instid1(SALU_CYCLE_3)
	s_mul_f32 s9, s2, 0x2f800000
	s_trunc_f32 s9, s9
	s_delay_alu instid0(SALU_CYCLE_3) | instskip(SKIP_1) | instid1(SALU_CYCLE_2)
	s_fmamk_f32 s2, s9, 0xcf800000, s2
	s_cvt_u32_f32 s15, s9
	s_cvt_u32_f32 s14, s2
	s_delay_alu instid0(SALU_CYCLE_3) | instskip(NEXT) | instid1(SALU_CYCLE_1)
	s_mul_u64 s[22:23], s[20:21], s[14:15]
	s_mul_hi_u32 s27, s14, s23
	s_mul_i32 s26, s14, s23
	s_mul_hi_u32 s24, s14, s22
	s_mul_i32 s9, s15, s22
	s_add_nc_u64 s[26:27], s[24:25], s[26:27]
	s_mul_hi_u32 s2, s15, s22
	s_mul_hi_u32 s28, s15, s23
	s_add_co_u32 s9, s26, s9
	s_add_co_ci_u32 s24, s27, s2
	s_mul_i32 s22, s15, s23
	s_add_co_ci_u32 s23, s28, 0
	s_delay_alu instid0(SALU_CYCLE_1) | instskip(NEXT) | instid1(SALU_CYCLE_1)
	s_add_nc_u64 s[22:23], s[24:25], s[22:23]
	s_add_co_u32 s14, s14, s22
	s_cselect_b32 s2, -1, 0
	s_delay_alu instid0(SALU_CYCLE_1) | instskip(SKIP_1) | instid1(SALU_CYCLE_1)
	s_cmp_lg_u32 s2, 0
	s_add_co_ci_u32 s15, s15, s23
	s_mul_u64 s[20:21], s[20:21], s[14:15]
	s_delay_alu instid0(SALU_CYCLE_1)
	s_mul_hi_u32 s23, s14, s21
	s_mul_i32 s22, s14, s21
	s_mul_hi_u32 s24, s14, s20
	s_mul_i32 s9, s15, s20
	s_add_nc_u64 s[22:23], s[24:25], s[22:23]
	s_mul_hi_u32 s2, s15, s20
	s_mul_hi_u32 s26, s15, s21
	s_add_co_u32 s9, s22, s9
	s_add_co_ci_u32 s24, s23, s2
	s_mul_i32 s20, s15, s21
	s_add_co_ci_u32 s21, s26, 0
	s_delay_alu instid0(SALU_CYCLE_1) | instskip(NEXT) | instid1(SALU_CYCLE_1)
	s_add_nc_u64 s[20:21], s[24:25], s[20:21]
	s_add_co_u32 s2, s14, s20
	s_cselect_b32 s9, -1, 0
	v_mul_hi_u32 v24, v16, s2
	s_cmp_lg_u32 s9, 0
	s_add_co_ci_u32 s24, s15, s21
	s_mov_b64 s[14:15], 0xffffffff
	v_mul_u64_e32 v[20:21], s[24:25], v[16:17]
	s_and_b64 s[14:15], s[2:3], s[14:15]
	v_mul_u64_e32 v[22:23], s[24:25], v[18:19]
	v_mul_u64_e32 v[14:15], s[14:15], v[18:19]
	s_delay_alu instid0(VALU_DEP_3) | instskip(NEXT) | instid1(VALU_DEP_1)
	v_add_nc_u64_e32 v[20:21], v[24:25], v[20:21]
	v_add_co_u32 v9, vcc_lo, v20, v14
	s_delay_alu instid0(VALU_DEP_2) | instskip(SKIP_1) | instid1(VALU_DEP_1)
	v_add_co_ci_u32_e32 v12, vcc_lo, v21, v15, vcc_lo
	v_add_co_ci_u32_e32 v23, vcc_lo, 0, v23, vcc_lo
	v_add_nc_u64_e32 v[12:13], v[12:13], v[22:23]
	s_delay_alu instid0(VALU_DEP_1) | instskip(NEXT) | instid1(VALU_DEP_1)
	v_mul_u64_e32 v[14:15], s[12:13], v[12:13]
	v_sub_co_u32 v11, vcc_lo, v16, v14
	v_add_nc_u64_e32 v[16:17], 1, v[12:13]
	s_delay_alu instid0(VALU_DEP_3) | instskip(SKIP_1) | instid1(VALU_DEP_4)
	v_sub_nc_u32_e32 v9, v18, v15
	v_sub_co_ci_u32_e64 v18, null, v18, v15, vcc_lo
	v_sub_co_u32 v14, s2, v11, s12
	s_delay_alu instid0(VALU_DEP_3) | instskip(NEXT) | instid1(VALU_DEP_2)
	v_subrev_co_ci_u32_e64 v9, null, s13, v9, vcc_lo
	v_cmp_le_u32_e32 vcc_lo, s12, v14
	s_delay_alu instid0(VALU_DEP_2) | instskip(SKIP_1) | instid1(VALU_DEP_2)
	v_subrev_co_ci_u32_e64 v9, null, 0, v9, s2
	v_cndmask_b32_e64 v14, 0, -1, vcc_lo
	v_cmp_le_u32_e32 vcc_lo, s13, v9
	v_cndmask_b32_e64 v15, 0, -1, vcc_lo
	v_cmp_le_u32_e32 vcc_lo, s12, v11
	;; [unrolled: 2-line block ×3, first 2 shown]
	v_cndmask_b32_e64 v19, 0, -1, vcc_lo
	v_cmp_eq_u32_e32 vcc_lo, s13, v9
	v_cndmask_b32_e32 v9, v15, v14, vcc_lo
	v_cmp_eq_u32_e32 vcc_lo, s13, v18
	v_add_nc_u64_e32 v[14:15], 2, v[12:13]
	v_cndmask_b32_e32 v11, v19, v11, vcc_lo
	s_delay_alu instid0(VALU_DEP_4) | instskip(NEXT) | instid1(VALU_DEP_2)
	v_cmp_ne_u32_e32 vcc_lo, 0, v9
	v_cmp_ne_u32_e64 s2, 0, v11
	s_delay_alu instid0(VALU_DEP_4) | instskip(NEXT) | instid1(VALU_DEP_1)
	v_dual_cndmask_b32 v9, v17, v15, vcc_lo :: v_dual_cndmask_b32 v11, v16, v14, vcc_lo
	v_dual_cndmask_b32 v12, v12, v11, s2 :: v_dual_mov_b32 v11, v10
	s_delay_alu instid0(VALU_DEP_1) | instskip(NEXT) | instid1(VALU_DEP_1)
	v_dual_cndmask_b32 v9, v13, v9, s2 :: v_dual_bitop2_b32 v12, v12, v10 bitop3:0x14
	v_xor_b32_e32 v13, v9, v10
	s_delay_alu instid0(VALU_DEP_1)
	v_sub_nc_u64_e32 v[10:11], v[12:13], v[10:11]
.LBB18_11:
	s_and_not1_saveexec_b32 s2, s3
	s_cbranch_execz .LBB18_13
; %bb.12:
	v_cvt_f32_u32_e32 v9, s10
	s_sub_co_i32 s3, 0, s10
	s_delay_alu instid0(VALU_DEP_1) | instskip(SKIP_1) | instid1(TRANS32_DEP_1)
	v_rcp_iflag_f32_e32 v9, v9
	v_nop
	v_mul_f32_e32 v9, 0x4f7ffffe, v9
	s_delay_alu instid0(VALU_DEP_1) | instskip(NEXT) | instid1(VALU_DEP_1)
	v_cvt_u32_f32_e32 v9, v9
	v_mul_lo_u32 v10, s3, v9
	s_delay_alu instid0(VALU_DEP_1) | instskip(NEXT) | instid1(VALU_DEP_1)
	v_mul_hi_u32 v10, v9, v10
	v_add_nc_u32_e32 v9, v9, v10
	s_delay_alu instid0(VALU_DEP_1) | instskip(NEXT) | instid1(VALU_DEP_1)
	v_mul_hi_u32 v9, v6, v9
	v_mul_lo_u32 v10, v9, s10
	s_delay_alu instid0(VALU_DEP_1) | instskip(NEXT) | instid1(VALU_DEP_1)
	v_dual_add_nc_u32 v11, 1, v9 :: v_dual_sub_nc_u32 v10, v6, v10
	v_subrev_nc_u32_e32 v12, s10, v10
	v_cmp_le_u32_e32 vcc_lo, s10, v10
	s_delay_alu instid0(VALU_DEP_2) | instskip(NEXT) | instid1(VALU_DEP_1)
	v_dual_cndmask_b32 v10, v10, v12 :: v_dual_cndmask_b32 v9, v9, v11
	v_cmp_le_u32_e32 vcc_lo, s10, v10
	s_delay_alu instid0(VALU_DEP_2) | instskip(NEXT) | instid1(VALU_DEP_1)
	v_add_nc_u32_e32 v11, 1, v9
	v_dual_cndmask_b32 v10, v9, v11 :: v_dual_mov_b32 v11, 0
.LBB18_13:
	s_or_b32 exec_lo, exec_lo, s2
	s_load_b512 s[36:51], s[0:1], 0x40
                                        ; implicit-def: $vgpr12_vgpr13
	s_mov_b32 s2, exec_lo
	v_mov_b32_e32 v14, 0
	s_wait_kmcnt 0x0
	s_mul_u64 s[8:9], s[42:43], s[40:41]
	s_delay_alu instid0(SALU_CYCLE_1) | instskip(NEXT) | instid1(SALU_CYCLE_1)
	s_mul_u64 s[12:13], s[8:9], s[44:45]
	v_or_b32_e32 v15, s13, v5
	s_delay_alu instid0(VALU_DEP_1)
	v_cmpx_ne_u64_e32 0, v[14:15]
	s_xor_b32 s3, exec_lo, s2
	s_cbranch_execz .LBB18_15
; %bb.14:
	s_ashr_i32 s14, s13, 31
	s_mov_b32 s29, 0
	s_mov_b32 s15, s14
	v_dual_mov_b32 v9, v8 :: v_dual_mov_b32 v17, v14
	s_add_nc_u64 s[20:21], s[12:13], s[14:15]
	v_mov_b32_e32 v15, v14
	s_xor_b64 s[20:21], s[20:21], s[14:15]
	s_delay_alu instid0(VALU_DEP_2) | instskip(SKIP_4) | instid1(SALU_CYCLE_1)
	v_add_nc_u64_e32 v[12:13], v[4:5], v[8:9]
	s_cvt_f32_u32 s2, s20
	s_cvt_f32_u32 s15, s21
	s_sub_nc_u64 s[24:25], 0, s[20:21]
	v_dual_mov_b32 v19, v14 :: v_dual_mov_b32 v25, v14
	s_fmamk_f32 s2, s15, 0x4f800000, s2
	s_delay_alu instid0(VALU_DEP_2) | instskip(SKIP_3) | instid1(TRANS32_DEP_1)
	v_xor_b32_e32 v16, v12, v8
	v_xor_b32_e32 v18, v13, v8
	;; [unrolled: 1-line block ×3, first 2 shown]
	v_s_rcp_f32 s2, s2
	s_mul_f32 s2, s2, 0x5f7ffffc
	s_delay_alu instid0(SALU_CYCLE_3) | instskip(NEXT) | instid1(SALU_CYCLE_3)
	s_mul_f32 s15, s2, 0x2f800000
	s_trunc_f32 s15, s15
	s_delay_alu instid0(SALU_CYCLE_3) | instskip(SKIP_1) | instid1(SALU_CYCLE_2)
	s_fmamk_f32 s2, s15, 0xcf800000, s2
	s_cvt_u32_f32 s23, s15
	s_cvt_u32_f32 s22, s2
	s_delay_alu instid0(SALU_CYCLE_3) | instskip(NEXT) | instid1(SALU_CYCLE_1)
	s_mul_u64 s[26:27], s[24:25], s[22:23]
	s_mul_hi_u32 s31, s22, s27
	s_mul_i32 s30, s22, s27
	s_mul_hi_u32 s28, s22, s26
	s_mul_i32 s15, s23, s26
	s_add_nc_u64 s[30:31], s[28:29], s[30:31]
	s_mul_hi_u32 s2, s23, s26
	s_mul_hi_u32 s33, s23, s27
	s_add_co_u32 s15, s30, s15
	s_add_co_ci_u32 s28, s31, s2
	s_mul_i32 s26, s23, s27
	s_add_co_ci_u32 s27, s33, 0
	s_delay_alu instid0(SALU_CYCLE_1) | instskip(NEXT) | instid1(SALU_CYCLE_1)
	s_add_nc_u64 s[26:27], s[28:29], s[26:27]
	s_add_co_u32 s22, s22, s26
	s_cselect_b32 s2, -1, 0
	s_delay_alu instid0(SALU_CYCLE_1) | instskip(SKIP_1) | instid1(SALU_CYCLE_1)
	s_cmp_lg_u32 s2, 0
	s_add_co_ci_u32 s23, s23, s27
	s_mul_u64 s[24:25], s[24:25], s[22:23]
	s_delay_alu instid0(SALU_CYCLE_1)
	s_mul_hi_u32 s27, s22, s25
	s_mul_i32 s26, s22, s25
	s_mul_hi_u32 s28, s22, s24
	s_mul_i32 s15, s23, s24
	s_add_nc_u64 s[26:27], s[28:29], s[26:27]
	s_mul_hi_u32 s2, s23, s24
	s_mul_hi_u32 s30, s23, s25
	s_add_co_u32 s15, s26, s15
	s_add_co_ci_u32 s28, s27, s2
	s_mul_i32 s24, s23, s25
	s_add_co_ci_u32 s25, s30, 0
	s_delay_alu instid0(SALU_CYCLE_1) | instskip(NEXT) | instid1(SALU_CYCLE_1)
	s_add_nc_u64 s[24:25], s[28:29], s[24:25]
	s_add_co_u32 s2, s22, s24
	s_cselect_b32 s15, -1, 0
	v_nop
	v_mul_hi_u32 v24, v16, s2
	s_cmp_lg_u32 s15, 0
	s_add_co_ci_u32 s28, s23, s25
	s_mov_b64 s[22:23], 0xffffffff
	v_mul_u64_e32 v[20:21], s[28:29], v[16:17]
	s_and_b64 s[22:23], s[2:3], s[22:23]
	v_mul_u64_e32 v[22:23], s[28:29], v[18:19]
	v_mul_u64_e32 v[12:13], s[22:23], v[18:19]
	s_delay_alu instid0(VALU_DEP_3) | instskip(NEXT) | instid1(VALU_DEP_1)
	v_add_nc_u64_e32 v[20:21], v[24:25], v[20:21]
	v_add_co_u32 v9, vcc_lo, v20, v12
	s_delay_alu instid0(VALU_DEP_2) | instskip(SKIP_1) | instid1(VALU_DEP_1)
	v_add_co_ci_u32_e32 v14, vcc_lo, v21, v13, vcc_lo
	v_add_co_ci_u32_e32 v23, vcc_lo, 0, v23, vcc_lo
	v_add_nc_u64_e32 v[12:13], v[14:15], v[22:23]
	s_delay_alu instid0(VALU_DEP_1) | instskip(NEXT) | instid1(VALU_DEP_1)
	v_mul_u64_e32 v[14:15], s[20:21], v[12:13]
	v_sub_nc_u32_e32 v9, v18, v15
	s_delay_alu instid0(VALU_DEP_2) | instskip(NEXT) | instid1(VALU_DEP_1)
	v_sub_co_u32 v14, vcc_lo, v16, v14
	v_sub_co_ci_u32_e64 v18, null, v18, v15, vcc_lo
	s_delay_alu instid0(VALU_DEP_3) | instskip(NEXT) | instid1(VALU_DEP_3)
	v_subrev_co_ci_u32_e64 v9, null, s21, v9, vcc_lo
	v_sub_co_u32 v16, s2, v14, s20
	s_delay_alu instid0(VALU_DEP_1) | instskip(NEXT) | instid1(VALU_DEP_2)
	v_subrev_co_ci_u32_e64 v9, null, 0, v9, s2
	v_cmp_le_u32_e32 vcc_lo, s20, v16
	v_cndmask_b32_e64 v15, 0, -1, vcc_lo
	s_delay_alu instid0(VALU_DEP_3)
	v_cmp_le_u32_e32 vcc_lo, s21, v9
	v_cndmask_b32_e64 v16, 0, -1, vcc_lo
	v_cmp_le_u32_e32 vcc_lo, s20, v14
	v_cndmask_b32_e64 v19, 0, -1, vcc_lo
	;; [unrolled: 2-line block ×3, first 2 shown]
	v_cmp_eq_u32_e32 vcc_lo, s21, v9
	v_cndmask_b32_e32 v9, v16, v15, vcc_lo
	v_cmp_eq_u32_e32 vcc_lo, s21, v18
	v_add_nc_u64_e32 v[14:15], 2, v[12:13]
	v_add_nc_u64_e32 v[16:17], 1, v[12:13]
	v_cndmask_b32_e32 v18, v20, v19, vcc_lo
	v_cmp_ne_u32_e32 vcc_lo, 0, v9
	s_delay_alu instid0(VALU_DEP_2) | instskip(NEXT) | instid1(VALU_DEP_4)
	v_cmp_ne_u32_e64 s2, 0, v18
	v_dual_cndmask_b32 v14, v16, v14 :: v_dual_cndmask_b32 v9, v17, v15
	s_delay_alu instid0(VALU_DEP_1) | instskip(SKIP_1) | instid1(VALU_DEP_2)
	v_dual_cndmask_b32 v12, v12, v14, s2 :: v_dual_cndmask_b32 v13, v13, v9, s2
	v_mov_b32_e32 v9, v8
	v_xor_b32_e32 v12, v12, v8
	s_delay_alu instid0(VALU_DEP_3) | instskip(NEXT) | instid1(VALU_DEP_1)
	v_xor_b32_e32 v13, v13, v8
	v_sub_nc_u64_e32 v[12:13], v[12:13], v[8:9]
.LBB18_15:
	s_and_not1_saveexec_b32 s2, s3
	s_cbranch_execz .LBB18_17
; %bb.16:
	v_cvt_f32_u32_e32 v8, s12
	s_sub_co_i32 s3, 0, s12
	s_delay_alu instid0(VALU_DEP_1) | instskip(SKIP_1) | instid1(TRANS32_DEP_1)
	v_rcp_iflag_f32_e32 v8, v8
	v_nop
	v_mul_f32_e32 v8, 0x4f7ffffe, v8
	s_delay_alu instid0(VALU_DEP_1) | instskip(NEXT) | instid1(VALU_DEP_1)
	v_cvt_u32_f32_e32 v8, v8
	v_mul_lo_u32 v9, s3, v8
	s_delay_alu instid0(VALU_DEP_1) | instskip(NEXT) | instid1(VALU_DEP_1)
	v_mul_hi_u32 v9, v8, v9
	v_add_nc_u32_e32 v8, v8, v9
	s_delay_alu instid0(VALU_DEP_1) | instskip(NEXT) | instid1(VALU_DEP_1)
	v_mul_hi_u32 v8, v4, v8
	v_mul_lo_u32 v9, v8, s12
	s_delay_alu instid0(VALU_DEP_1) | instskip(NEXT) | instid1(VALU_DEP_1)
	v_sub_nc_u32_e32 v9, v4, v9
	v_subrev_nc_u32_e32 v13, s12, v9
	v_cmp_le_u32_e32 vcc_lo, s12, v9
	s_delay_alu instid0(VALU_DEP_2) | instskip(NEXT) | instid1(VALU_DEP_1)
	v_dual_cndmask_b32 v9, v9, v13 :: v_dual_add_nc_u32 v12, 1, v8
	v_dual_cndmask_b32 v8, v8, v12 :: v_dual_mov_b32 v13, 0
	s_delay_alu instid0(VALU_DEP_2) | instskip(NEXT) | instid1(VALU_DEP_2)
	v_cmp_le_u32_e32 vcc_lo, s12, v9
	v_add_nc_u32_e32 v12, 1, v8
	s_delay_alu instid0(VALU_DEP_1)
	v_cndmask_b32_e32 v12, v8, v12, vcc_lo
.LBB18_17:
	s_or_b32 exec_lo, exec_lo, s2
	s_delay_alu instid0(VALU_DEP_1) | instskip(SKIP_2) | instid1(VALU_DEP_2)
	v_mul_u64_e32 v[8:9], s[12:13], v[12:13]
	s_mov_b32 s2, exec_lo
	v_mov_b32_e32 v14, 0
	v_sub_nc_u64_e32 v[8:9], v[4:5], v[8:9]
                                        ; implicit-def: $vgpr4_vgpr5
	s_delay_alu instid0(VALU_DEP_1) | instskip(NEXT) | instid1(VALU_DEP_1)
	v_or_b32_e32 v15, s9, v9
	v_cmpx_ne_u64_e32 0, v[14:15]
	s_xor_b32 s3, exec_lo, s2
	s_cbranch_execz .LBB18_19
; %bb.18:
	s_ashr_i32 s12, s9, 31
	s_mov_b32 s27, 0
	s_mov_b32 s13, s12
	v_dual_mov_b32 v19, v14 :: v_dual_ashrrev_i32 v4, 31, v9
	s_add_nc_u64 s[14:15], s[8:9], s[12:13]
	v_mov_b32_e32 v21, v14
	s_xor_b64 s[14:15], s[14:15], s[12:13]
	s_delay_alu instid0(VALU_DEP_2)
	v_mov_b32_e32 v5, v4
	s_cvt_f32_u32 s2, s14
	s_cvt_f32_u32 s13, s15
	s_sub_nc_u64 s[22:23], 0, s[14:15]
	v_mov_b32_e32 v27, v14
	v_add_nc_u64_e32 v[16:17], v[8:9], v[4:5]
	s_fmamk_f32 s2, s13, 0x4f800000, s2
	v_mov_b32_e32 v15, v14
	s_delay_alu instid0(SALU_CYCLE_2) | instskip(NEXT) | instid1(VALU_DEP_2)
	v_s_rcp_f32 s2, s2
	v_xor_b32_e32 v18, v16, v4
	s_delay_alu instid0(VALU_DEP_3) | instskip(SKIP_1) | instid1(TRANS32_DEP_1)
	v_xor_b32_e32 v20, v17, v4
	v_xor_b32_e32 v4, s12, v4
	s_mul_f32 s2, s2, 0x5f7ffffc
	s_delay_alu instid0(SALU_CYCLE_3) | instskip(NEXT) | instid1(SALU_CYCLE_3)
	s_mul_f32 s13, s2, 0x2f800000
	s_trunc_f32 s13, s13
	s_delay_alu instid0(SALU_CYCLE_3) | instskip(SKIP_1) | instid1(SALU_CYCLE_2)
	s_fmamk_f32 s2, s13, 0xcf800000, s2
	s_cvt_u32_f32 s21, s13
	s_cvt_u32_f32 s20, s2
	s_delay_alu instid0(SALU_CYCLE_3) | instskip(NEXT) | instid1(SALU_CYCLE_1)
	s_mul_u64 s[24:25], s[22:23], s[20:21]
	s_mul_hi_u32 s29, s20, s25
	s_mul_i32 s28, s20, s25
	s_mul_hi_u32 s26, s20, s24
	s_mul_i32 s13, s21, s24
	s_add_nc_u64 s[28:29], s[26:27], s[28:29]
	s_mul_hi_u32 s2, s21, s24
	s_mul_hi_u32 s30, s21, s25
	s_add_co_u32 s13, s28, s13
	s_add_co_ci_u32 s26, s29, s2
	s_mul_i32 s24, s21, s25
	s_add_co_ci_u32 s25, s30, 0
	s_delay_alu instid0(SALU_CYCLE_1) | instskip(NEXT) | instid1(SALU_CYCLE_1)
	s_add_nc_u64 s[24:25], s[26:27], s[24:25]
	s_add_co_u32 s20, s20, s24
	s_cselect_b32 s2, -1, 0
	s_delay_alu instid0(SALU_CYCLE_1) | instskip(SKIP_1) | instid1(SALU_CYCLE_1)
	s_cmp_lg_u32 s2, 0
	s_add_co_ci_u32 s21, s21, s25
	s_mul_u64 s[22:23], s[22:23], s[20:21]
	s_delay_alu instid0(SALU_CYCLE_1)
	s_mul_hi_u32 s25, s20, s23
	s_mul_i32 s24, s20, s23
	s_mul_hi_u32 s26, s20, s22
	s_mul_i32 s13, s21, s22
	s_add_nc_u64 s[24:25], s[26:27], s[24:25]
	s_mul_hi_u32 s2, s21, s22
	s_mul_hi_u32 s28, s21, s23
	s_add_co_u32 s13, s24, s13
	s_add_co_ci_u32 s26, s25, s2
	s_mul_i32 s22, s21, s23
	s_add_co_ci_u32 s23, s28, 0
	s_delay_alu instid0(SALU_CYCLE_1) | instskip(NEXT) | instid1(SALU_CYCLE_1)
	s_add_nc_u64 s[22:23], s[26:27], s[22:23]
	s_add_co_u32 s2, s20, s22
	s_cselect_b32 s13, -1, 0
	v_mul_hi_u32 v26, v18, s2
	s_cmp_lg_u32 s13, 0
	s_add_co_ci_u32 s26, s21, s23
	s_mov_b64 s[20:21], 0xffffffff
	v_mul_u64_e32 v[22:23], s[26:27], v[18:19]
	s_and_b64 s[20:21], s[2:3], s[20:21]
	v_mul_u64_e32 v[24:25], s[26:27], v[20:21]
	v_mul_u64_e32 v[16:17], s[20:21], v[20:21]
	s_delay_alu instid0(VALU_DEP_3) | instskip(NEXT) | instid1(VALU_DEP_1)
	v_add_nc_u64_e32 v[22:23], v[26:27], v[22:23]
	v_add_co_u32 v5, vcc_lo, v22, v16
	s_delay_alu instid0(VALU_DEP_2) | instskip(SKIP_1) | instid1(VALU_DEP_1)
	v_add_co_ci_u32_e32 v14, vcc_lo, v23, v17, vcc_lo
	v_add_co_ci_u32_e32 v25, vcc_lo, 0, v25, vcc_lo
	v_add_nc_u64_e32 v[14:15], v[14:15], v[24:25]
	s_delay_alu instid0(VALU_DEP_1) | instskip(NEXT) | instid1(VALU_DEP_1)
	v_mul_u64_e32 v[16:17], s[14:15], v[14:15]
	v_sub_nc_u32_e32 v5, v20, v17
	s_delay_alu instid0(VALU_DEP_2) | instskip(NEXT) | instid1(VALU_DEP_1)
	v_sub_co_u32 v16, vcc_lo, v18, v16
	v_sub_co_ci_u32_e64 v20, null, v20, v17, vcc_lo
	s_delay_alu instid0(VALU_DEP_3) | instskip(NEXT) | instid1(VALU_DEP_3)
	v_subrev_co_ci_u32_e64 v5, null, s15, v5, vcc_lo
	v_sub_co_u32 v18, s2, v16, s14
	s_delay_alu instid0(VALU_DEP_1) | instskip(NEXT) | instid1(VALU_DEP_2)
	v_subrev_co_ci_u32_e64 v5, null, 0, v5, s2
	v_cmp_le_u32_e32 vcc_lo, s14, v18
	v_cndmask_b32_e64 v17, 0, -1, vcc_lo
	s_delay_alu instid0(VALU_DEP_3)
	v_cmp_le_u32_e32 vcc_lo, s15, v5
	v_cndmask_b32_e64 v18, 0, -1, vcc_lo
	v_cmp_le_u32_e32 vcc_lo, s14, v16
	v_cndmask_b32_e64 v21, 0, -1, vcc_lo
	;; [unrolled: 2-line block ×3, first 2 shown]
	v_cmp_eq_u32_e32 vcc_lo, s15, v5
	v_cndmask_b32_e32 v5, v18, v17, vcc_lo
	v_cmp_eq_u32_e32 vcc_lo, s15, v20
	v_add_nc_u64_e32 v[16:17], 2, v[14:15]
	v_add_nc_u64_e32 v[18:19], 1, v[14:15]
	v_cndmask_b32_e32 v20, v22, v21, vcc_lo
	v_cmp_ne_u32_e32 vcc_lo, 0, v5
	s_delay_alu instid0(VALU_DEP_2) | instskip(NEXT) | instid1(VALU_DEP_4)
	v_cmp_ne_u32_e64 s2, 0, v20
	v_dual_cndmask_b32 v16, v18, v16 :: v_dual_cndmask_b32 v5, v19, v17
	s_delay_alu instid0(VALU_DEP_1) | instskip(NEXT) | instid1(VALU_DEP_1)
	v_dual_cndmask_b32 v14, v14, v16, s2 :: v_dual_cndmask_b32 v15, v15, v5, s2
	v_dual_mov_b32 v5, v4 :: v_dual_bitop2_b32 v14, v14, v4 bitop3:0x14
	s_delay_alu instid0(VALU_DEP_2) | instskip(NEXT) | instid1(VALU_DEP_1)
	v_xor_b32_e32 v15, v15, v4
	v_sub_nc_u64_e32 v[4:5], v[14:15], v[4:5]
.LBB18_19:
	s_and_not1_saveexec_b32 s2, s3
	s_cbranch_execz .LBB18_21
; %bb.20:
	v_cvt_f32_u32_e32 v4, s8
	s_sub_co_i32 s3, 0, s8
	s_delay_alu instid0(VALU_DEP_1) | instskip(SKIP_1) | instid1(TRANS32_DEP_1)
	v_rcp_iflag_f32_e32 v4, v4
	v_nop
	v_mul_f32_e32 v4, 0x4f7ffffe, v4
	s_delay_alu instid0(VALU_DEP_1) | instskip(NEXT) | instid1(VALU_DEP_1)
	v_cvt_u32_f32_e32 v4, v4
	v_mul_lo_u32 v5, s3, v4
	s_delay_alu instid0(VALU_DEP_1) | instskip(NEXT) | instid1(VALU_DEP_1)
	v_mul_hi_u32 v5, v4, v5
	v_add_nc_u32_e32 v4, v4, v5
	s_delay_alu instid0(VALU_DEP_1) | instskip(NEXT) | instid1(VALU_DEP_1)
	v_mul_hi_u32 v4, v8, v4
	v_mul_lo_u32 v5, v4, s8
	s_delay_alu instid0(VALU_DEP_1) | instskip(NEXT) | instid1(VALU_DEP_1)
	v_dual_add_nc_u32 v14, 1, v4 :: v_dual_sub_nc_u32 v5, v8, v5
	v_subrev_nc_u32_e32 v15, s8, v5
	v_cmp_le_u32_e32 vcc_lo, s8, v5
	s_delay_alu instid0(VALU_DEP_2) | instskip(NEXT) | instid1(VALU_DEP_1)
	v_dual_cndmask_b32 v5, v5, v15 :: v_dual_cndmask_b32 v4, v4, v14
	v_cmp_le_u32_e32 vcc_lo, s8, v5
	s_delay_alu instid0(VALU_DEP_2) | instskip(NEXT) | instid1(VALU_DEP_1)
	v_dual_mov_b32 v5, 0 :: v_dual_add_nc_u32 v14, 1, v4
	v_cndmask_b32_e32 v4, v4, v14, vcc_lo
.LBB18_21:
	s_or_b32 exec_lo, exec_lo, s2
	s_delay_alu instid0(VALU_DEP_1) | instskip(SKIP_1) | instid1(VALU_DEP_1)
	v_mul_u64_e32 v[14:15], s[8:9], v[4:5]
                                        ; implicit-def: $vgpr16_vgpr17
	s_mov_b32 s2, exec_lo
	v_sub_nc_u64_e32 v[8:9], v[8:9], v[14:15]
	s_delay_alu instid0(VALU_DEP_1) | instskip(NEXT) | instid1(VALU_DEP_1)
	v_dual_mov_b32 v14, 0 :: v_dual_bitop2_b32 v15, s41, v9 bitop3:0x54
	v_cmpx_ne_u64_e32 0, v[14:15]
	s_xor_b32 s3, exec_lo, s2
	s_cbranch_execz .LBB18_23
; %bb.22:
	s_ashr_i32 s8, s41, 31
	s_mov_b32 s25, 0
	s_mov_b32 s9, s8
	v_dual_mov_b32 v21, v14 :: v_dual_ashrrev_i32 v16, 31, v9
	s_add_nc_u64 s[12:13], s[40:41], s[8:9]
	v_dual_mov_b32 v29, v14 :: v_dual_mov_b32 v15, v14
	s_xor_b64 s[12:13], s[12:13], s[8:9]
	s_delay_alu instid0(VALU_DEP_2) | instskip(SKIP_3) | instid1(VALU_DEP_1)
	v_mov_b32_e32 v17, v16
	s_cvt_f32_u32 s2, s12
	s_cvt_f32_u32 s9, s13
	s_sub_nc_u64 s[20:21], 0, s[12:13]
	v_add_nc_u64_e32 v[18:19], v[8:9], v[16:17]
	s_delay_alu instid0(SALU_CYCLE_1) | instskip(SKIP_1) | instid1(SALU_CYCLE_2)
	s_fmamk_f32 s2, s9, 0x4f800000, s2
	v_mov_b32_e32 v23, v14
	v_s_rcp_f32 s2, s2
	s_delay_alu instid0(VALU_DEP_2) | instskip(NEXT) | instid1(VALU_DEP_3)
	v_xor_b32_e32 v20, v18, v16
	v_xor_b32_e32 v22, v19, v16
	;; [unrolled: 1-line block ×3, first 2 shown]
	s_delay_alu instid0(TRANS32_DEP_1) | instskip(NEXT) | instid1(SALU_CYCLE_3)
	s_mul_f32 s2, s2, 0x5f7ffffc
	s_mul_f32 s9, s2, 0x2f800000
	s_delay_alu instid0(SALU_CYCLE_3) | instskip(NEXT) | instid1(SALU_CYCLE_3)
	s_trunc_f32 s9, s9
	s_fmamk_f32 s2, s9, 0xcf800000, s2
	s_cvt_u32_f32 s15, s9
	s_delay_alu instid0(SALU_CYCLE_2) | instskip(NEXT) | instid1(SALU_CYCLE_3)
	s_cvt_u32_f32 s14, s2
	s_mul_u64 s[22:23], s[20:21], s[14:15]
	s_delay_alu instid0(SALU_CYCLE_1)
	s_mul_hi_u32 s27, s14, s23
	s_mul_i32 s26, s14, s23
	s_mul_hi_u32 s24, s14, s22
	s_mul_i32 s9, s15, s22
	s_add_nc_u64 s[26:27], s[24:25], s[26:27]
	s_mul_hi_u32 s2, s15, s22
	s_mul_hi_u32 s28, s15, s23
	s_add_co_u32 s9, s26, s9
	s_add_co_ci_u32 s24, s27, s2
	s_mul_i32 s22, s15, s23
	s_add_co_ci_u32 s23, s28, 0
	s_delay_alu instid0(SALU_CYCLE_1) | instskip(NEXT) | instid1(SALU_CYCLE_1)
	s_add_nc_u64 s[22:23], s[24:25], s[22:23]
	s_add_co_u32 s14, s14, s22
	s_cselect_b32 s2, -1, 0
	s_delay_alu instid0(SALU_CYCLE_1) | instskip(SKIP_1) | instid1(SALU_CYCLE_1)
	s_cmp_lg_u32 s2, 0
	s_add_co_ci_u32 s15, s15, s23
	s_mul_u64 s[20:21], s[20:21], s[14:15]
	s_delay_alu instid0(SALU_CYCLE_1)
	s_mul_hi_u32 s23, s14, s21
	s_mul_i32 s22, s14, s21
	s_mul_hi_u32 s24, s14, s20
	s_mul_i32 s9, s15, s20
	s_add_nc_u64 s[22:23], s[24:25], s[22:23]
	s_mul_hi_u32 s2, s15, s20
	s_mul_hi_u32 s26, s15, s21
	s_add_co_u32 s9, s22, s9
	s_add_co_ci_u32 s24, s23, s2
	s_mul_i32 s20, s15, s21
	s_add_co_ci_u32 s21, s26, 0
	s_delay_alu instid0(SALU_CYCLE_1) | instskip(NEXT) | instid1(SALU_CYCLE_1)
	s_add_nc_u64 s[20:21], s[24:25], s[20:21]
	s_add_co_u32 s2, s14, s20
	s_cselect_b32 s9, -1, 0
	v_mul_hi_u32 v28, v20, s2
	s_cmp_lg_u32 s9, 0
	s_add_co_ci_u32 s24, s15, s21
	s_mov_b64 s[14:15], 0xffffffff
	v_mul_u64_e32 v[24:25], s[24:25], v[20:21]
	s_and_b64 s[14:15], s[2:3], s[14:15]
	v_mul_u64_e32 v[26:27], s[24:25], v[22:23]
	v_mul_u64_e32 v[18:19], s[14:15], v[22:23]
	s_delay_alu instid0(VALU_DEP_3) | instskip(NEXT) | instid1(VALU_DEP_1)
	v_add_nc_u64_e32 v[24:25], v[28:29], v[24:25]
	v_add_co_u32 v14, vcc_lo, v24, v18
	s_delay_alu instid0(VALU_DEP_2) | instskip(SKIP_1) | instid1(VALU_DEP_1)
	v_add_co_ci_u32_e32 v14, vcc_lo, v25, v19, vcc_lo
	v_add_co_ci_u32_e32 v27, vcc_lo, 0, v27, vcc_lo
	v_add_nc_u64_e32 v[14:15], v[14:15], v[26:27]
	s_delay_alu instid0(VALU_DEP_1) | instskip(NEXT) | instid1(VALU_DEP_1)
	v_mul_u64_e32 v[18:19], s[12:13], v[14:15]
	v_sub_nc_u32_e32 v17, v22, v19
	s_delay_alu instid0(VALU_DEP_2) | instskip(NEXT) | instid1(VALU_DEP_1)
	v_sub_co_u32 v18, vcc_lo, v20, v18
	v_sub_co_ci_u32_e64 v22, null, v22, v19, vcc_lo
	s_delay_alu instid0(VALU_DEP_3) | instskip(NEXT) | instid1(VALU_DEP_3)
	v_subrev_co_ci_u32_e64 v17, null, s13, v17, vcc_lo
	v_sub_co_u32 v20, s2, v18, s12
	s_delay_alu instid0(VALU_DEP_1) | instskip(NEXT) | instid1(VALU_DEP_2)
	v_subrev_co_ci_u32_e64 v17, null, 0, v17, s2
	v_cmp_le_u32_e32 vcc_lo, s12, v20
	v_cndmask_b32_e64 v19, 0, -1, vcc_lo
	s_delay_alu instid0(VALU_DEP_3)
	v_cmp_le_u32_e32 vcc_lo, s13, v17
	v_cndmask_b32_e64 v20, 0, -1, vcc_lo
	v_cmp_le_u32_e32 vcc_lo, s12, v18
	v_cndmask_b32_e64 v23, 0, -1, vcc_lo
	;; [unrolled: 2-line block ×3, first 2 shown]
	v_cmp_eq_u32_e32 vcc_lo, s13, v17
	v_cndmask_b32_e32 v17, v20, v19, vcc_lo
	v_cmp_eq_u32_e32 vcc_lo, s13, v22
	v_add_nc_u64_e32 v[18:19], 2, v[14:15]
	v_add_nc_u64_e32 v[20:21], 1, v[14:15]
	v_cndmask_b32_e32 v22, v24, v23, vcc_lo
	v_cmp_ne_u32_e32 vcc_lo, 0, v17
	s_delay_alu instid0(VALU_DEP_2) | instskip(NEXT) | instid1(VALU_DEP_4)
	v_cmp_ne_u32_e64 s2, 0, v22
	v_dual_cndmask_b32 v18, v20, v18 :: v_dual_cndmask_b32 v17, v21, v19
	s_delay_alu instid0(VALU_DEP_1) | instskip(NEXT) | instid1(VALU_DEP_1)
	v_dual_cndmask_b32 v14, v14, v18, s2 :: v_dual_cndmask_b32 v15, v15, v17, s2
	v_dual_mov_b32 v17, v16 :: v_dual_bitop2_b32 v14, v14, v16 bitop3:0x14
	s_delay_alu instid0(VALU_DEP_2) | instskip(NEXT) | instid1(VALU_DEP_1)
	v_xor_b32_e32 v15, v15, v16
	v_sub_nc_u64_e32 v[16:17], v[14:15], v[16:17]
.LBB18_23:
	s_and_not1_saveexec_b32 s2, s3
	s_cbranch_execz .LBB18_25
; %bb.24:
	v_cvt_f32_u32_e32 v14, s40
	s_sub_co_i32 s3, 0, s40
	s_delay_alu instid0(VALU_DEP_1) | instskip(SKIP_1) | instid1(TRANS32_DEP_1)
	v_rcp_iflag_f32_e32 v14, v14
	v_nop
	v_mul_f32_e32 v14, 0x4f7ffffe, v14
	s_delay_alu instid0(VALU_DEP_1) | instskip(NEXT) | instid1(VALU_DEP_1)
	v_cvt_u32_f32_e32 v14, v14
	v_mul_lo_u32 v15, s3, v14
	s_delay_alu instid0(VALU_DEP_1) | instskip(NEXT) | instid1(VALU_DEP_1)
	v_mul_hi_u32 v15, v14, v15
	v_add_nc_u32_e32 v14, v14, v15
	s_delay_alu instid0(VALU_DEP_1) | instskip(NEXT) | instid1(VALU_DEP_1)
	v_mul_hi_u32 v14, v8, v14
	v_mul_lo_u32 v15, v14, s40
	s_delay_alu instid0(VALU_DEP_1) | instskip(NEXT) | instid1(VALU_DEP_1)
	v_dual_add_nc_u32 v16, 1, v14 :: v_dual_sub_nc_u32 v15, v8, v15
	v_subrev_nc_u32_e32 v17, s40, v15
	v_cmp_le_u32_e32 vcc_lo, s40, v15
	s_delay_alu instid0(VALU_DEP_2) | instskip(NEXT) | instid1(VALU_DEP_4)
	v_dual_cndmask_b32 v15, v15, v17, vcc_lo :: v_dual_mov_b32 v17, 0
	v_cndmask_b32_e32 v14, v14, v16, vcc_lo
	s_delay_alu instid0(VALU_DEP_2) | instskip(NEXT) | instid1(VALU_DEP_2)
	v_cmp_le_u32_e32 vcc_lo, s40, v15
	v_add_nc_u32_e32 v16, 1, v14
	s_delay_alu instid0(VALU_DEP_1)
	v_cndmask_b32_e32 v16, v14, v16, vcc_lo
.LBB18_25:
	s_or_b32 exec_lo, exec_lo, s2
	v_mul_u64_e32 v[14:15], s[10:11], v[10:11]
	s_load_b64 s[0:1], s[0:1], 0x80
	s_delay_alu instid0(VALU_DEP_1) | instskip(NEXT) | instid1(VALU_DEP_1)
	v_sub_nc_u64_e32 v[6:7], v[6:7], v[14:15]
	v_mad_nc_u64_u32 v[14:15], v6, s16, s[4:5]
	s_delay_alu instid0(VALU_DEP_1) | instskip(NEXT) | instid1(VALU_DEP_1)
	v_mad_u32 v7, v7, s16, v15
	v_mad_u32 v15, v6, s17, v7
	s_delay_alu instid0(VALU_DEP_1) | instskip(NEXT) | instid1(VALU_DEP_1)
	v_mad_nc_u64_u32 v[6:7], v10, s18, v[14:15]
	v_mad_u32 v7, v11, s18, v7
	s_delay_alu instid0(VALU_DEP_1) | instskip(NEXT) | instid1(VALU_DEP_1)
	v_mad_u32 v7, v10, s19, v7
	v_mad_nc_u64_u32 v[6:7], v2, s36, v[6:7]
	s_delay_alu instid0(VALU_DEP_1) | instskip(NEXT) | instid1(VALU_DEP_1)
	v_mad_u32 v3, v3, s36, v7
	v_mad_u32 v7, v2, s37, v3
	s_delay_alu instid0(VALU_DEP_1) | instskip(NEXT) | instid1(VALU_DEP_1)
	v_mad_nc_u64_u32 v[2:3], v0, s38, v[6:7]
	v_mad_u32 v1, v1, s38, v3
	s_delay_alu instid0(VALU_DEP_1) | instskip(SKIP_4) | instid1(VALU_DEP_1)
	v_mad_u32 v3, v0, s39, v1
	v_mul_u64_e32 v[0:1], s[40:41], v[16:17]
	global_load_b32 v6, v[2:3], off
	v_sub_nc_u64_e32 v[0:1], v[8:9], v[0:1]
	s_wait_xcnt 0x0
	v_mad_nc_u64_u32 v[2:3], v0, s46, s[6:7]
	s_delay_alu instid0(VALU_DEP_1) | instskip(NEXT) | instid1(VALU_DEP_1)
	v_mad_u32 v1, v1, s46, v3
	v_mad_u32 v3, v0, s47, v1
	s_delay_alu instid0(VALU_DEP_1) | instskip(NEXT) | instid1(VALU_DEP_1)
	v_mad_nc_u64_u32 v[0:1], v16, s48, v[2:3]
	v_mad_u32 v1, v17, s48, v1
	s_delay_alu instid0(VALU_DEP_1) | instskip(NEXT) | instid1(VALU_DEP_1)
	v_mad_u32 v1, v16, s49, v1
	v_mad_nc_u64_u32 v[0:1], v4, s50, v[0:1]
	s_delay_alu instid0(VALU_DEP_1) | instskip(NEXT) | instid1(VALU_DEP_1)
	v_mad_u32 v1, v5, s50, v1
	v_mad_u32 v1, v4, s51, v1
	s_wait_kmcnt 0x0
	s_delay_alu instid0(VALU_DEP_1) | instskip(NEXT) | instid1(VALU_DEP_1)
	v_mad_nc_u64_u32 v[0:1], v12, s0, v[0:1]
	v_mad_u32 v1, v13, s0, v1
	s_delay_alu instid0(VALU_DEP_1)
	v_mad_u32 v1, v12, s1, v1
	s_wait_loadcnt 0x0
	v_cvt_f16_f32_e32 v2, v6
	global_store_b16 v[0:1], v2, off
.LBB18_26:
	s_endpgm
	.section	.rodata,"a",@progbits
	.p2align	6, 0x0
	.amdhsa_kernel _ZL10cpy_scalarIXadL_ZL12cpy_1_scalarIf6__halfEvPKcPcEEEvS3_S4_lllllllllllllll
		.amdhsa_group_segment_fixed_size 0
		.amdhsa_private_segment_fixed_size 0
		.amdhsa_kernarg_size 392
		.amdhsa_user_sgpr_count 2
		.amdhsa_user_sgpr_dispatch_ptr 0
		.amdhsa_user_sgpr_queue_ptr 0
		.amdhsa_user_sgpr_kernarg_segment_ptr 1
		.amdhsa_user_sgpr_dispatch_id 0
		.amdhsa_user_sgpr_kernarg_preload_length 0
		.amdhsa_user_sgpr_kernarg_preload_offset 0
		.amdhsa_user_sgpr_private_segment_size 0
		.amdhsa_wavefront_size32 1
		.amdhsa_uses_dynamic_stack 0
		.amdhsa_enable_private_segment 0
		.amdhsa_system_sgpr_workgroup_id_x 1
		.amdhsa_system_sgpr_workgroup_id_y 0
		.amdhsa_system_sgpr_workgroup_id_z 0
		.amdhsa_system_sgpr_workgroup_info 0
		.amdhsa_system_vgpr_workitem_id 0
		.amdhsa_next_free_vgpr 30
		.amdhsa_next_free_sgpr 52
		.amdhsa_named_barrier_count 0
		.amdhsa_reserve_vcc 1
		.amdhsa_float_round_mode_32 0
		.amdhsa_float_round_mode_16_64 0
		.amdhsa_float_denorm_mode_32 3
		.amdhsa_float_denorm_mode_16_64 3
		.amdhsa_fp16_overflow 0
		.amdhsa_memory_ordered 1
		.amdhsa_forward_progress 1
		.amdhsa_inst_pref_size 40
		.amdhsa_round_robin_scheduling 0
		.amdhsa_exception_fp_ieee_invalid_op 0
		.amdhsa_exception_fp_denorm_src 0
		.amdhsa_exception_fp_ieee_div_zero 0
		.amdhsa_exception_fp_ieee_overflow 0
		.amdhsa_exception_fp_ieee_underflow 0
		.amdhsa_exception_fp_ieee_inexact 0
		.amdhsa_exception_int_div_zero 0
	.end_amdhsa_kernel
	.section	.text._ZL10cpy_scalarIXadL_ZL12cpy_1_scalarIf6__halfEvPKcPcEEEvS3_S4_lllllllllllllll,"axG",@progbits,_ZL10cpy_scalarIXadL_ZL12cpy_1_scalarIf6__halfEvPKcPcEEEvS3_S4_lllllllllllllll,comdat
.Lfunc_end18:
	.size	_ZL10cpy_scalarIXadL_ZL12cpy_1_scalarIf6__halfEvPKcPcEEEvS3_S4_lllllllllllllll, .Lfunc_end18-_ZL10cpy_scalarIXadL_ZL12cpy_1_scalarIf6__halfEvPKcPcEEEvS3_S4_lllllllllllllll
                                        ; -- End function
	.set _ZL10cpy_scalarIXadL_ZL12cpy_1_scalarIf6__halfEvPKcPcEEEvS3_S4_lllllllllllllll.num_vgpr, 30
	.set _ZL10cpy_scalarIXadL_ZL12cpy_1_scalarIf6__halfEvPKcPcEEEvS3_S4_lllllllllllllll.num_agpr, 0
	.set _ZL10cpy_scalarIXadL_ZL12cpy_1_scalarIf6__halfEvPKcPcEEEvS3_S4_lllllllllllllll.numbered_sgpr, 52
	.set _ZL10cpy_scalarIXadL_ZL12cpy_1_scalarIf6__halfEvPKcPcEEEvS3_S4_lllllllllllllll.num_named_barrier, 0
	.set _ZL10cpy_scalarIXadL_ZL12cpy_1_scalarIf6__halfEvPKcPcEEEvS3_S4_lllllllllllllll.private_seg_size, 0
	.set _ZL10cpy_scalarIXadL_ZL12cpy_1_scalarIf6__halfEvPKcPcEEEvS3_S4_lllllllllllllll.uses_vcc, 1
	.set _ZL10cpy_scalarIXadL_ZL12cpy_1_scalarIf6__halfEvPKcPcEEEvS3_S4_lllllllllllllll.uses_flat_scratch, 0
	.set _ZL10cpy_scalarIXadL_ZL12cpy_1_scalarIf6__halfEvPKcPcEEEvS3_S4_lllllllllllllll.has_dyn_sized_stack, 0
	.set _ZL10cpy_scalarIXadL_ZL12cpy_1_scalarIf6__halfEvPKcPcEEEvS3_S4_lllllllllllllll.has_recursion, 0
	.set _ZL10cpy_scalarIXadL_ZL12cpy_1_scalarIf6__halfEvPKcPcEEEvS3_S4_lllllllllllllll.has_indirect_call, 0
	.section	.AMDGPU.csdata,"",@progbits
; Kernel info:
; codeLenInByte = 5008
; TotalNumSgprs: 54
; NumVgprs: 30
; ScratchSize: 0
; MemoryBound: 0
; FloatMode: 240
; IeeeMode: 1
; LDSByteSize: 0 bytes/workgroup (compile time only)
; SGPRBlocks: 0
; VGPRBlocks: 1
; NumSGPRsForWavesPerEU: 54
; NumVGPRsForWavesPerEU: 30
; NamedBarCnt: 0
; Occupancy: 16
; WaveLimiterHint : 0
; COMPUTE_PGM_RSRC2:SCRATCH_EN: 0
; COMPUTE_PGM_RSRC2:USER_SGPR: 2
; COMPUTE_PGM_RSRC2:TRAP_HANDLER: 0
; COMPUTE_PGM_RSRC2:TGID_X_EN: 1
; COMPUTE_PGM_RSRC2:TGID_Y_EN: 0
; COMPUTE_PGM_RSRC2:TGID_Z_EN: 0
; COMPUTE_PGM_RSRC2:TIDIG_COMP_CNT: 0
	.section	.text._ZL10cpy_scalarIXadL_ZL12cpy_1_scalarI6__halfS1_EvPKcPcEEEvS3_S4_lllllllllllllll,"axG",@progbits,_ZL10cpy_scalarIXadL_ZL12cpy_1_scalarI6__halfS1_EvPKcPcEEEvS3_S4_lllllllllllllll,comdat
	.globl	_ZL10cpy_scalarIXadL_ZL12cpy_1_scalarI6__halfS1_EvPKcPcEEEvS3_S4_lllllllllllllll ; -- Begin function _ZL10cpy_scalarIXadL_ZL12cpy_1_scalarI6__halfS1_EvPKcPcEEEvS3_S4_lllllllllllllll
	.p2align	8
	.type	_ZL10cpy_scalarIXadL_ZL12cpy_1_scalarI6__halfS1_EvPKcPcEEEvS3_S4_lllllllllllllll,@function
_ZL10cpy_scalarIXadL_ZL12cpy_1_scalarI6__halfS1_EvPKcPcEEEvS3_S4_lllllllllllllll: ; @_ZL10cpy_scalarIXadL_ZL12cpy_1_scalarI6__halfS1_EvPKcPcEEEvS3_S4_lllllllllllllll
; %bb.0:
	s_load_b32 s2, s[0:1], 0x94
	s_bfe_u32 s4, ttmp6, 0x4000c
	v_mov_b32_e32 v2, 0
	s_add_co_i32 s21, s4, 1
	s_load_b512 s[4:19], s[0:1], 0x0
	s_and_b32 s3, ttmp6, 15
	s_mul_i32 s21, ttmp9, s21
	s_getreg_b32 s20, hwreg(HW_REG_IB_STS2, 6, 4)
	v_mov_b32_e32 v1, v2
	s_add_co_i32 s3, s3, s21
	s_wait_kmcnt 0x0
	s_and_b32 s2, s2, 0xffff
	s_cmp_eq_u32 s20, 0
	s_cselect_b32 s3, ttmp9, s3
	s_delay_alu instid0(SALU_CYCLE_1) | instskip(SKIP_1) | instid1(VALU_DEP_1)
	v_mad_nc_u64_u32 v[4:5], s2, s3, v[0:1]
	s_mov_b32 s2, exec_lo
	v_cmpx_gt_i64_e64 s[8:9], v[4:5]
	s_cbranch_execz .LBB19_26
; %bb.1:
	s_mul_u64 s[8:9], s[12:13], s[10:11]
                                        ; implicit-def: $vgpr0_vgpr1
	s_mov_b32 s2, exec_lo
	s_mul_u64 s[12:13], s[8:9], s[14:15]
	s_delay_alu instid0(SALU_CYCLE_1) | instskip(NEXT) | instid1(VALU_DEP_1)
	v_dual_ashrrev_i32 v8, 31, v5 :: v_dual_bitop2_b32 v3, s13, v5 bitop3:0x54
	v_cmpx_ne_u64_e32 0, v[2:3]
	s_xor_b32 s3, exec_lo, s2
	s_cbranch_execz .LBB19_3
; %bb.2:
	s_ashr_i32 s14, s13, 31
	s_mov_b32 s29, 0
	s_mov_b32 s15, s14
	v_dual_mov_b32 v9, v8 :: v_dual_mov_b32 v3, 0
	s_add_nc_u64 s[20:21], s[12:13], s[14:15]
	s_delay_alu instid0(SALU_CYCLE_1) | instskip(NEXT) | instid1(VALU_DEP_1)
	s_xor_b64 s[20:21], s[20:21], s[14:15]
	v_add_nc_u64_e32 v[0:1], v[4:5], v[8:9]
	s_cvt_f32_u32 s2, s20
	s_cvt_f32_u32 s15, s21
	s_sub_nc_u64 s[24:25], 0, s[20:21]
	v_dual_mov_b32 v7, v3 :: v_dual_mov_b32 v15, v3
	s_delay_alu instid0(SALU_CYCLE_1) | instskip(NEXT) | instid1(VALU_DEP_2)
	s_fmamk_f32 s2, s15, 0x4f800000, s2
	v_xor_b32_e32 v2, v0, v8
	v_xor_b32_e32 v6, v1, v8
	s_delay_alu instid0(SALU_CYCLE_1) | instskip(NEXT) | instid1(TRANS32_DEP_1)
	v_s_rcp_f32 s2, s2
	s_mul_f32 s2, s2, 0x5f7ffffc
	s_delay_alu instid0(SALU_CYCLE_3) | instskip(NEXT) | instid1(SALU_CYCLE_3)
	s_mul_f32 s15, s2, 0x2f800000
	s_trunc_f32 s15, s15
	s_delay_alu instid0(SALU_CYCLE_3) | instskip(SKIP_1) | instid1(SALU_CYCLE_2)
	s_fmamk_f32 s2, s15, 0xcf800000, s2
	s_cvt_u32_f32 s23, s15
	s_cvt_u32_f32 s22, s2
	s_delay_alu instid0(SALU_CYCLE_3) | instskip(NEXT) | instid1(SALU_CYCLE_1)
	s_mul_u64 s[26:27], s[24:25], s[22:23]
	s_mul_hi_u32 s31, s22, s27
	s_mul_i32 s30, s22, s27
	s_mul_hi_u32 s28, s22, s26
	s_mul_i32 s15, s23, s26
	s_add_nc_u64 s[30:31], s[28:29], s[30:31]
	s_mul_hi_u32 s2, s23, s26
	s_mul_hi_u32 s33, s23, s27
	s_add_co_u32 s15, s30, s15
	s_add_co_ci_u32 s28, s31, s2
	s_mul_i32 s26, s23, s27
	s_add_co_ci_u32 s27, s33, 0
	s_delay_alu instid0(SALU_CYCLE_1) | instskip(NEXT) | instid1(SALU_CYCLE_1)
	s_add_nc_u64 s[26:27], s[28:29], s[26:27]
	s_add_co_u32 s22, s22, s26
	s_cselect_b32 s2, -1, 0
	s_delay_alu instid0(SALU_CYCLE_1) | instskip(SKIP_1) | instid1(SALU_CYCLE_1)
	s_cmp_lg_u32 s2, 0
	s_add_co_ci_u32 s23, s23, s27
	s_mul_u64 s[24:25], s[24:25], s[22:23]
	s_delay_alu instid0(SALU_CYCLE_1)
	s_mul_hi_u32 s27, s22, s25
	s_mul_i32 s26, s22, s25
	s_mul_hi_u32 s28, s22, s24
	s_mul_i32 s15, s23, s24
	s_add_nc_u64 s[26:27], s[28:29], s[26:27]
	s_mul_hi_u32 s2, s23, s24
	s_mul_hi_u32 s30, s23, s25
	s_add_co_u32 s15, s26, s15
	s_add_co_ci_u32 s28, s27, s2
	s_mul_i32 s24, s23, s25
	s_add_co_ci_u32 s25, s30, 0
	s_delay_alu instid0(SALU_CYCLE_1) | instskip(NEXT) | instid1(SALU_CYCLE_1)
	s_add_nc_u64 s[24:25], s[28:29], s[24:25]
	s_add_co_u32 s2, s22, s24
	s_cselect_b32 s15, -1, 0
	v_nop
	v_mul_hi_u32 v14, v2, s2
	s_cmp_lg_u32 s15, 0
	s_add_co_ci_u32 s28, s23, s25
	s_mov_b64 s[22:23], 0xffffffff
	v_mul_u64_e32 v[10:11], s[28:29], v[2:3]
	s_and_b64 s[22:23], s[2:3], s[22:23]
	v_mul_u64_e32 v[12:13], s[28:29], v[6:7]
	v_mul_u64_e32 v[0:1], s[22:23], v[6:7]
	s_delay_alu instid0(VALU_DEP_3) | instskip(NEXT) | instid1(VALU_DEP_1)
	v_add_nc_u64_e32 v[10:11], v[14:15], v[10:11]
	v_add_co_u32 v0, vcc_lo, v10, v0
	s_delay_alu instid0(VALU_DEP_2) | instskip(SKIP_1) | instid1(VALU_DEP_1)
	v_add_co_ci_u32_e32 v14, vcc_lo, v11, v1, vcc_lo
	v_add_co_ci_u32_e32 v13, vcc_lo, 0, v13, vcc_lo
	v_add_nc_u64_e32 v[0:1], v[14:15], v[12:13]
	s_delay_alu instid0(VALU_DEP_1) | instskip(NEXT) | instid1(VALU_DEP_1)
	v_mul_u64_e32 v[10:11], s[20:21], v[0:1]
	v_sub_nc_u32_e32 v3, v6, v11
	s_delay_alu instid0(VALU_DEP_2) | instskip(NEXT) | instid1(VALU_DEP_1)
	v_sub_co_u32 v2, vcc_lo, v2, v10
	v_sub_co_ci_u32_e64 v9, null, v6, v11, vcc_lo
	s_delay_alu instid0(VALU_DEP_3) | instskip(NEXT) | instid1(VALU_DEP_3)
	v_subrev_co_ci_u32_e64 v3, null, s21, v3, vcc_lo
	v_sub_co_u32 v7, s2, v2, s20
	s_delay_alu instid0(VALU_DEP_1) | instskip(NEXT) | instid1(VALU_DEP_2)
	v_subrev_co_ci_u32_e64 v3, null, 0, v3, s2
	v_cmp_le_u32_e32 vcc_lo, s20, v7
	v_cndmask_b32_e64 v6, 0, -1, vcc_lo
	s_delay_alu instid0(VALU_DEP_3)
	v_cmp_le_u32_e32 vcc_lo, s21, v3
	v_cndmask_b32_e64 v7, 0, -1, vcc_lo
	v_cmp_le_u32_e32 vcc_lo, s20, v2
	v_cndmask_b32_e64 v10, 0, -1, vcc_lo
	;; [unrolled: 2-line block ×3, first 2 shown]
	v_cmp_eq_u32_e32 vcc_lo, s21, v3
	v_add_nc_u64_e32 v[2:3], 2, v[0:1]
	v_cndmask_b32_e32 v12, v7, v6, vcc_lo
	v_cmp_eq_u32_e32 vcc_lo, s21, v9
	v_add_nc_u64_e32 v[6:7], 1, v[0:1]
	v_cndmask_b32_e32 v9, v11, v10, vcc_lo
	s_delay_alu instid0(VALU_DEP_4) | instskip(NEXT) | instid1(VALU_DEP_3)
	v_cmp_ne_u32_e32 vcc_lo, 0, v12
	v_dual_cndmask_b32 v3, v7, v3 :: v_dual_cndmask_b32 v6, v6, v2
	v_xor_b32_e32 v2, s14, v8
	s_delay_alu instid0(VALU_DEP_4) | instskip(NEXT) | instid1(VALU_DEP_1)
	v_cmp_ne_u32_e64 s2, 0, v9
	v_dual_cndmask_b32 v1, v1, v3, s2 :: v_dual_cndmask_b32 v0, v0, v6, s2
	s_delay_alu instid0(VALU_DEP_1) | instskip(NEXT) | instid1(VALU_DEP_2)
	v_dual_mov_b32 v3, v2 :: v_dual_bitop2_b32 v1, v1, v2 bitop3:0x14
	v_xor_b32_e32 v0, v0, v2
	s_delay_alu instid0(VALU_DEP_1)
	v_sub_nc_u64_e32 v[0:1], v[0:1], v[2:3]
.LBB19_3:
	s_and_not1_saveexec_b32 s2, s3
	s_cbranch_execz .LBB19_5
; %bb.4:
	v_cvt_f32_u32_e32 v0, s12
	s_sub_co_i32 s3, 0, s12
	s_delay_alu instid0(VALU_DEP_1) | instskip(SKIP_1) | instid1(TRANS32_DEP_1)
	v_rcp_iflag_f32_e32 v0, v0
	v_nop
	v_mul_f32_e32 v0, 0x4f7ffffe, v0
	s_delay_alu instid0(VALU_DEP_1) | instskip(NEXT) | instid1(VALU_DEP_1)
	v_cvt_u32_f32_e32 v0, v0
	v_mul_lo_u32 v1, s3, v0
	s_delay_alu instid0(VALU_DEP_1) | instskip(NEXT) | instid1(VALU_DEP_1)
	v_mul_hi_u32 v1, v0, v1
	v_add_nc_u32_e32 v0, v0, v1
	s_delay_alu instid0(VALU_DEP_1) | instskip(NEXT) | instid1(VALU_DEP_1)
	v_mul_hi_u32 v0, v4, v0
	v_mul_lo_u32 v1, v0, s12
	s_delay_alu instid0(VALU_DEP_1) | instskip(NEXT) | instid1(VALU_DEP_1)
	v_dual_add_nc_u32 v2, 1, v0 :: v_dual_sub_nc_u32 v1, v4, v1
	v_subrev_nc_u32_e32 v3, s12, v1
	v_cmp_le_u32_e32 vcc_lo, s12, v1
	s_delay_alu instid0(VALU_DEP_2) | instskip(NEXT) | instid1(VALU_DEP_1)
	v_dual_cndmask_b32 v1, v1, v3 :: v_dual_cndmask_b32 v0, v0, v2
	v_cmp_le_u32_e32 vcc_lo, s12, v1
	s_delay_alu instid0(VALU_DEP_2) | instskip(NEXT) | instid1(VALU_DEP_1)
	v_dual_mov_b32 v1, 0 :: v_dual_add_nc_u32 v2, 1, v0
	v_cndmask_b32_e32 v0, v0, v2, vcc_lo
.LBB19_5:
	s_or_b32 exec_lo, exec_lo, s2
	s_delay_alu instid0(VALU_DEP_1) | instskip(SKIP_2) | instid1(VALU_DEP_2)
	v_mul_u64_e32 v[2:3], s[12:13], v[0:1]
	s_mov_b32 s2, exec_lo
	v_mov_b32_e32 v10, 0
	v_sub_nc_u64_e32 v[6:7], v[4:5], v[2:3]
                                        ; implicit-def: $vgpr2_vgpr3
	s_delay_alu instid0(VALU_DEP_1) | instskip(NEXT) | instid1(VALU_DEP_1)
	v_or_b32_e32 v11, s9, v7
	v_cmpx_ne_u64_e32 0, v[10:11]
	s_xor_b32 s3, exec_lo, s2
	s_cbranch_execz .LBB19_7
; %bb.6:
	s_ashr_i32 s12, s9, 31
	s_mov_b32 s27, 0
	s_mov_b32 s13, s12
	v_dual_mov_b32 v15, v10 :: v_dual_ashrrev_i32 v2, 31, v7
	s_add_nc_u64 s[14:15], s[8:9], s[12:13]
	v_dual_mov_b32 v23, v10 :: v_dual_mov_b32 v11, v10
	s_xor_b64 s[14:15], s[14:15], s[12:13]
	s_delay_alu instid0(VALU_DEP_2) | instskip(SKIP_3) | instid1(VALU_DEP_1)
	v_mov_b32_e32 v3, v2
	s_cvt_f32_u32 s2, s14
	s_cvt_f32_u32 s13, s15
	s_sub_nc_u64 s[22:23], 0, s[14:15]
	v_add_nc_u64_e32 v[12:13], v[6:7], v[2:3]
	s_delay_alu instid0(SALU_CYCLE_1) | instskip(SKIP_1) | instid1(SALU_CYCLE_2)
	s_fmamk_f32 s2, s13, 0x4f800000, s2
	v_mov_b32_e32 v17, v10
	v_s_rcp_f32 s2, s2
	s_delay_alu instid0(VALU_DEP_2) | instskip(NEXT) | instid1(VALU_DEP_3)
	v_xor_b32_e32 v14, v12, v2
	v_xor_b32_e32 v16, v13, v2
	;; [unrolled: 1-line block ×3, first 2 shown]
	s_delay_alu instid0(TRANS32_DEP_1) | instskip(NEXT) | instid1(SALU_CYCLE_3)
	s_mul_f32 s2, s2, 0x5f7ffffc
	s_mul_f32 s13, s2, 0x2f800000
	s_delay_alu instid0(SALU_CYCLE_3) | instskip(NEXT) | instid1(SALU_CYCLE_3)
	s_trunc_f32 s13, s13
	s_fmamk_f32 s2, s13, 0xcf800000, s2
	s_cvt_u32_f32 s21, s13
	s_delay_alu instid0(SALU_CYCLE_2) | instskip(NEXT) | instid1(SALU_CYCLE_3)
	s_cvt_u32_f32 s20, s2
	s_mul_u64 s[24:25], s[22:23], s[20:21]
	s_delay_alu instid0(SALU_CYCLE_1)
	s_mul_hi_u32 s29, s20, s25
	s_mul_i32 s28, s20, s25
	s_mul_hi_u32 s26, s20, s24
	s_mul_i32 s13, s21, s24
	s_add_nc_u64 s[28:29], s[26:27], s[28:29]
	s_mul_hi_u32 s2, s21, s24
	s_mul_hi_u32 s30, s21, s25
	s_add_co_u32 s13, s28, s13
	s_add_co_ci_u32 s26, s29, s2
	s_mul_i32 s24, s21, s25
	s_add_co_ci_u32 s25, s30, 0
	s_delay_alu instid0(SALU_CYCLE_1) | instskip(NEXT) | instid1(SALU_CYCLE_1)
	s_add_nc_u64 s[24:25], s[26:27], s[24:25]
	s_add_co_u32 s20, s20, s24
	s_cselect_b32 s2, -1, 0
	s_delay_alu instid0(SALU_CYCLE_1) | instskip(SKIP_1) | instid1(SALU_CYCLE_1)
	s_cmp_lg_u32 s2, 0
	s_add_co_ci_u32 s21, s21, s25
	s_mul_u64 s[22:23], s[22:23], s[20:21]
	s_delay_alu instid0(SALU_CYCLE_1)
	s_mul_hi_u32 s25, s20, s23
	s_mul_i32 s24, s20, s23
	s_mul_hi_u32 s26, s20, s22
	s_mul_i32 s13, s21, s22
	s_add_nc_u64 s[24:25], s[26:27], s[24:25]
	s_mul_hi_u32 s2, s21, s22
	s_mul_hi_u32 s28, s21, s23
	s_add_co_u32 s13, s24, s13
	s_add_co_ci_u32 s26, s25, s2
	s_mul_i32 s22, s21, s23
	s_add_co_ci_u32 s23, s28, 0
	s_delay_alu instid0(SALU_CYCLE_1) | instskip(NEXT) | instid1(SALU_CYCLE_1)
	s_add_nc_u64 s[22:23], s[26:27], s[22:23]
	s_add_co_u32 s2, s20, s22
	s_cselect_b32 s13, -1, 0
	v_mul_hi_u32 v22, v14, s2
	s_cmp_lg_u32 s13, 0
	s_add_co_ci_u32 s26, s21, s23
	s_mov_b64 s[20:21], 0xffffffff
	v_mul_u64_e32 v[18:19], s[26:27], v[14:15]
	s_and_b64 s[20:21], s[2:3], s[20:21]
	v_mul_u64_e32 v[20:21], s[26:27], v[16:17]
	v_mul_u64_e32 v[12:13], s[20:21], v[16:17]
	s_delay_alu instid0(VALU_DEP_3) | instskip(NEXT) | instid1(VALU_DEP_1)
	v_add_nc_u64_e32 v[18:19], v[22:23], v[18:19]
	v_add_co_u32 v3, vcc_lo, v18, v12
	s_delay_alu instid0(VALU_DEP_2) | instskip(SKIP_1) | instid1(VALU_DEP_1)
	v_add_co_ci_u32_e32 v10, vcc_lo, v19, v13, vcc_lo
	v_add_co_ci_u32_e32 v21, vcc_lo, 0, v21, vcc_lo
	v_add_nc_u64_e32 v[10:11], v[10:11], v[20:21]
	s_delay_alu instid0(VALU_DEP_1) | instskip(NEXT) | instid1(VALU_DEP_1)
	v_mul_u64_e32 v[12:13], s[14:15], v[10:11]
	v_sub_co_u32 v9, vcc_lo, v14, v12
	v_add_nc_u64_e32 v[14:15], 1, v[10:11]
	s_delay_alu instid0(VALU_DEP_3) | instskip(SKIP_1) | instid1(VALU_DEP_4)
	v_sub_nc_u32_e32 v3, v16, v13
	v_sub_co_ci_u32_e64 v16, null, v16, v13, vcc_lo
	v_sub_co_u32 v12, s2, v9, s14
	s_delay_alu instid0(VALU_DEP_3) | instskip(NEXT) | instid1(VALU_DEP_2)
	v_subrev_co_ci_u32_e64 v3, null, s15, v3, vcc_lo
	v_cmp_le_u32_e32 vcc_lo, s14, v12
	s_delay_alu instid0(VALU_DEP_2) | instskip(SKIP_1) | instid1(VALU_DEP_2)
	v_subrev_co_ci_u32_e64 v3, null, 0, v3, s2
	v_cndmask_b32_e64 v12, 0, -1, vcc_lo
	v_cmp_le_u32_e32 vcc_lo, s15, v3
	v_cndmask_b32_e64 v13, 0, -1, vcc_lo
	v_cmp_le_u32_e32 vcc_lo, s14, v9
	;; [unrolled: 2-line block ×3, first 2 shown]
	v_cndmask_b32_e64 v17, 0, -1, vcc_lo
	v_cmp_eq_u32_e32 vcc_lo, s15, v3
	v_cndmask_b32_e32 v3, v13, v12, vcc_lo
	v_cmp_eq_u32_e32 vcc_lo, s15, v16
	v_add_nc_u64_e32 v[12:13], 2, v[10:11]
	v_cndmask_b32_e32 v9, v17, v9, vcc_lo
	s_delay_alu instid0(VALU_DEP_4) | instskip(NEXT) | instid1(VALU_DEP_2)
	v_cmp_ne_u32_e32 vcc_lo, 0, v3
	v_cmp_ne_u32_e64 s2, 0, v9
	s_delay_alu instid0(VALU_DEP_4) | instskip(NEXT) | instid1(VALU_DEP_1)
	v_cndmask_b32_e32 v9, v14, v12, vcc_lo
	v_cndmask_b32_e64 v9, v10, v9, s2
	s_delay_alu instid0(VALU_DEP_1) | instskip(NEXT) | instid1(VALU_DEP_1)
	v_dual_cndmask_b32 v3, v15, v13, vcc_lo :: v_dual_bitop2_b32 v10, v9, v2 bitop3:0x14
	v_dual_cndmask_b32 v11, v11, v3, s2 :: v_dual_mov_b32 v3, v2
	s_delay_alu instid0(VALU_DEP_1) | instskip(NEXT) | instid1(VALU_DEP_1)
	v_xor_b32_e32 v11, v11, v2
	v_sub_nc_u64_e32 v[2:3], v[10:11], v[2:3]
.LBB19_7:
	s_and_not1_saveexec_b32 s2, s3
	s_cbranch_execz .LBB19_9
; %bb.8:
	v_cvt_f32_u32_e32 v2, s8
	s_sub_co_i32 s3, 0, s8
	s_delay_alu instid0(VALU_DEP_1) | instskip(SKIP_1) | instid1(TRANS32_DEP_1)
	v_rcp_iflag_f32_e32 v2, v2
	v_nop
	v_mul_f32_e32 v2, 0x4f7ffffe, v2
	s_delay_alu instid0(VALU_DEP_1) | instskip(NEXT) | instid1(VALU_DEP_1)
	v_cvt_u32_f32_e32 v2, v2
	v_mul_lo_u32 v3, s3, v2
	s_delay_alu instid0(VALU_DEP_1) | instskip(NEXT) | instid1(VALU_DEP_1)
	v_mul_hi_u32 v3, v2, v3
	v_add_nc_u32_e32 v2, v2, v3
	s_delay_alu instid0(VALU_DEP_1) | instskip(NEXT) | instid1(VALU_DEP_1)
	v_mul_hi_u32 v2, v6, v2
	v_mul_lo_u32 v3, v2, s8
	s_delay_alu instid0(VALU_DEP_1) | instskip(NEXT) | instid1(VALU_DEP_1)
	v_dual_add_nc_u32 v9, 1, v2 :: v_dual_sub_nc_u32 v3, v6, v3
	v_subrev_nc_u32_e32 v10, s8, v3
	v_cmp_le_u32_e32 vcc_lo, s8, v3
	s_delay_alu instid0(VALU_DEP_2) | instskip(NEXT) | instid1(VALU_DEP_1)
	v_dual_cndmask_b32 v3, v3, v10 :: v_dual_cndmask_b32 v2, v2, v9
	v_cmp_le_u32_e32 vcc_lo, s8, v3
	s_delay_alu instid0(VALU_DEP_2) | instskip(NEXT) | instid1(VALU_DEP_1)
	v_dual_add_nc_u32 v9, 1, v2 :: v_dual_mov_b32 v3, 0
	v_cndmask_b32_e32 v2, v2, v9, vcc_lo
.LBB19_9:
	s_or_b32 exec_lo, exec_lo, s2
	s_delay_alu instid0(VALU_DEP_1) | instskip(SKIP_2) | instid1(VALU_DEP_2)
	v_mul_u64_e32 v[10:11], s[8:9], v[2:3]
	s_mov_b32 s2, exec_lo
	v_mov_b32_e32 v12, 0
	v_sub_nc_u64_e32 v[6:7], v[6:7], v[10:11]
                                        ; implicit-def: $vgpr10_vgpr11
	s_delay_alu instid0(VALU_DEP_1) | instskip(NEXT) | instid1(VALU_DEP_1)
	v_or_b32_e32 v13, s11, v7
	v_cmpx_ne_u64_e32 0, v[12:13]
	s_xor_b32 s3, exec_lo, s2
	s_cbranch_execz .LBB19_11
; %bb.10:
	s_ashr_i32 s8, s11, 31
	s_mov_b32 s25, 0
	s_mov_b32 s9, s8
	v_dual_mov_b32 v17, v12 :: v_dual_ashrrev_i32 v10, 31, v7
	s_add_nc_u64 s[12:13], s[10:11], s[8:9]
	v_mov_b32_e32 v19, v12
	s_xor_b64 s[12:13], s[12:13], s[8:9]
	s_delay_alu instid0(VALU_DEP_2)
	v_mov_b32_e32 v11, v10
	s_cvt_f32_u32 s2, s12
	s_cvt_f32_u32 s9, s13
	s_sub_nc_u64 s[20:21], 0, s[12:13]
	v_mov_b32_e32 v25, v12
	v_add_nc_u64_e32 v[14:15], v[6:7], v[10:11]
	s_fmamk_f32 s2, s9, 0x4f800000, s2
	v_mov_b32_e32 v13, v12
	s_delay_alu instid0(SALU_CYCLE_2) | instskip(NEXT) | instid1(VALU_DEP_2)
	v_s_rcp_f32 s2, s2
	v_xor_b32_e32 v16, v14, v10
	s_delay_alu instid0(VALU_DEP_3) | instskip(SKIP_1) | instid1(TRANS32_DEP_1)
	v_xor_b32_e32 v18, v15, v10
	v_xor_b32_e32 v10, s8, v10
	s_mul_f32 s2, s2, 0x5f7ffffc
	s_delay_alu instid0(SALU_CYCLE_3) | instskip(NEXT) | instid1(SALU_CYCLE_3)
	s_mul_f32 s9, s2, 0x2f800000
	s_trunc_f32 s9, s9
	s_delay_alu instid0(SALU_CYCLE_3) | instskip(SKIP_1) | instid1(SALU_CYCLE_2)
	s_fmamk_f32 s2, s9, 0xcf800000, s2
	s_cvt_u32_f32 s15, s9
	s_cvt_u32_f32 s14, s2
	s_delay_alu instid0(SALU_CYCLE_3) | instskip(NEXT) | instid1(SALU_CYCLE_1)
	s_mul_u64 s[22:23], s[20:21], s[14:15]
	s_mul_hi_u32 s27, s14, s23
	s_mul_i32 s26, s14, s23
	s_mul_hi_u32 s24, s14, s22
	s_mul_i32 s9, s15, s22
	s_add_nc_u64 s[26:27], s[24:25], s[26:27]
	s_mul_hi_u32 s2, s15, s22
	s_mul_hi_u32 s28, s15, s23
	s_add_co_u32 s9, s26, s9
	s_add_co_ci_u32 s24, s27, s2
	s_mul_i32 s22, s15, s23
	s_add_co_ci_u32 s23, s28, 0
	s_delay_alu instid0(SALU_CYCLE_1) | instskip(NEXT) | instid1(SALU_CYCLE_1)
	s_add_nc_u64 s[22:23], s[24:25], s[22:23]
	s_add_co_u32 s14, s14, s22
	s_cselect_b32 s2, -1, 0
	s_delay_alu instid0(SALU_CYCLE_1) | instskip(SKIP_1) | instid1(SALU_CYCLE_1)
	s_cmp_lg_u32 s2, 0
	s_add_co_ci_u32 s15, s15, s23
	s_mul_u64 s[20:21], s[20:21], s[14:15]
	s_delay_alu instid0(SALU_CYCLE_1)
	s_mul_hi_u32 s23, s14, s21
	s_mul_i32 s22, s14, s21
	s_mul_hi_u32 s24, s14, s20
	s_mul_i32 s9, s15, s20
	s_add_nc_u64 s[22:23], s[24:25], s[22:23]
	s_mul_hi_u32 s2, s15, s20
	s_mul_hi_u32 s26, s15, s21
	s_add_co_u32 s9, s22, s9
	s_add_co_ci_u32 s24, s23, s2
	s_mul_i32 s20, s15, s21
	s_add_co_ci_u32 s21, s26, 0
	s_delay_alu instid0(SALU_CYCLE_1) | instskip(NEXT) | instid1(SALU_CYCLE_1)
	s_add_nc_u64 s[20:21], s[24:25], s[20:21]
	s_add_co_u32 s2, s14, s20
	s_cselect_b32 s9, -1, 0
	v_mul_hi_u32 v24, v16, s2
	s_cmp_lg_u32 s9, 0
	s_add_co_ci_u32 s24, s15, s21
	s_mov_b64 s[14:15], 0xffffffff
	v_mul_u64_e32 v[20:21], s[24:25], v[16:17]
	s_and_b64 s[14:15], s[2:3], s[14:15]
	v_mul_u64_e32 v[22:23], s[24:25], v[18:19]
	v_mul_u64_e32 v[14:15], s[14:15], v[18:19]
	s_delay_alu instid0(VALU_DEP_3) | instskip(NEXT) | instid1(VALU_DEP_1)
	v_add_nc_u64_e32 v[20:21], v[24:25], v[20:21]
	v_add_co_u32 v9, vcc_lo, v20, v14
	s_delay_alu instid0(VALU_DEP_2) | instskip(SKIP_1) | instid1(VALU_DEP_1)
	v_add_co_ci_u32_e32 v12, vcc_lo, v21, v15, vcc_lo
	v_add_co_ci_u32_e32 v23, vcc_lo, 0, v23, vcc_lo
	v_add_nc_u64_e32 v[12:13], v[12:13], v[22:23]
	s_delay_alu instid0(VALU_DEP_1) | instskip(NEXT) | instid1(VALU_DEP_1)
	v_mul_u64_e32 v[14:15], s[12:13], v[12:13]
	v_sub_co_u32 v11, vcc_lo, v16, v14
	v_add_nc_u64_e32 v[16:17], 1, v[12:13]
	s_delay_alu instid0(VALU_DEP_3) | instskip(SKIP_1) | instid1(VALU_DEP_4)
	v_sub_nc_u32_e32 v9, v18, v15
	v_sub_co_ci_u32_e64 v18, null, v18, v15, vcc_lo
	v_sub_co_u32 v14, s2, v11, s12
	s_delay_alu instid0(VALU_DEP_3) | instskip(NEXT) | instid1(VALU_DEP_2)
	v_subrev_co_ci_u32_e64 v9, null, s13, v9, vcc_lo
	v_cmp_le_u32_e32 vcc_lo, s12, v14
	s_delay_alu instid0(VALU_DEP_2) | instskip(SKIP_1) | instid1(VALU_DEP_2)
	v_subrev_co_ci_u32_e64 v9, null, 0, v9, s2
	v_cndmask_b32_e64 v14, 0, -1, vcc_lo
	v_cmp_le_u32_e32 vcc_lo, s13, v9
	v_cndmask_b32_e64 v15, 0, -1, vcc_lo
	v_cmp_le_u32_e32 vcc_lo, s12, v11
	;; [unrolled: 2-line block ×3, first 2 shown]
	v_cndmask_b32_e64 v19, 0, -1, vcc_lo
	v_cmp_eq_u32_e32 vcc_lo, s13, v9
	v_cndmask_b32_e32 v9, v15, v14, vcc_lo
	v_cmp_eq_u32_e32 vcc_lo, s13, v18
	v_add_nc_u64_e32 v[14:15], 2, v[12:13]
	v_cndmask_b32_e32 v11, v19, v11, vcc_lo
	s_delay_alu instid0(VALU_DEP_4) | instskip(NEXT) | instid1(VALU_DEP_2)
	v_cmp_ne_u32_e32 vcc_lo, 0, v9
	v_cmp_ne_u32_e64 s2, 0, v11
	s_delay_alu instid0(VALU_DEP_4) | instskip(NEXT) | instid1(VALU_DEP_1)
	v_dual_cndmask_b32 v9, v17, v15, vcc_lo :: v_dual_cndmask_b32 v11, v16, v14, vcc_lo
	v_dual_cndmask_b32 v12, v12, v11, s2 :: v_dual_mov_b32 v11, v10
	s_delay_alu instid0(VALU_DEP_1) | instskip(NEXT) | instid1(VALU_DEP_1)
	v_dual_cndmask_b32 v9, v13, v9, s2 :: v_dual_bitop2_b32 v12, v12, v10 bitop3:0x14
	v_xor_b32_e32 v13, v9, v10
	s_delay_alu instid0(VALU_DEP_1)
	v_sub_nc_u64_e32 v[10:11], v[12:13], v[10:11]
.LBB19_11:
	s_and_not1_saveexec_b32 s2, s3
	s_cbranch_execz .LBB19_13
; %bb.12:
	v_cvt_f32_u32_e32 v9, s10
	s_sub_co_i32 s3, 0, s10
	s_delay_alu instid0(VALU_DEP_1) | instskip(SKIP_1) | instid1(TRANS32_DEP_1)
	v_rcp_iflag_f32_e32 v9, v9
	v_nop
	v_mul_f32_e32 v9, 0x4f7ffffe, v9
	s_delay_alu instid0(VALU_DEP_1) | instskip(NEXT) | instid1(VALU_DEP_1)
	v_cvt_u32_f32_e32 v9, v9
	v_mul_lo_u32 v10, s3, v9
	s_delay_alu instid0(VALU_DEP_1) | instskip(NEXT) | instid1(VALU_DEP_1)
	v_mul_hi_u32 v10, v9, v10
	v_add_nc_u32_e32 v9, v9, v10
	s_delay_alu instid0(VALU_DEP_1) | instskip(NEXT) | instid1(VALU_DEP_1)
	v_mul_hi_u32 v9, v6, v9
	v_mul_lo_u32 v10, v9, s10
	s_delay_alu instid0(VALU_DEP_1) | instskip(NEXT) | instid1(VALU_DEP_1)
	v_dual_add_nc_u32 v11, 1, v9 :: v_dual_sub_nc_u32 v10, v6, v10
	v_subrev_nc_u32_e32 v12, s10, v10
	v_cmp_le_u32_e32 vcc_lo, s10, v10
	s_delay_alu instid0(VALU_DEP_2) | instskip(NEXT) | instid1(VALU_DEP_1)
	v_dual_cndmask_b32 v10, v10, v12 :: v_dual_cndmask_b32 v9, v9, v11
	v_cmp_le_u32_e32 vcc_lo, s10, v10
	s_delay_alu instid0(VALU_DEP_2) | instskip(NEXT) | instid1(VALU_DEP_1)
	v_add_nc_u32_e32 v11, 1, v9
	v_dual_cndmask_b32 v10, v9, v11 :: v_dual_mov_b32 v11, 0
.LBB19_13:
	s_or_b32 exec_lo, exec_lo, s2
	s_load_b512 s[36:51], s[0:1], 0x40
                                        ; implicit-def: $vgpr12_vgpr13
	s_mov_b32 s2, exec_lo
	v_mov_b32_e32 v14, 0
	s_wait_kmcnt 0x0
	s_mul_u64 s[8:9], s[42:43], s[40:41]
	s_delay_alu instid0(SALU_CYCLE_1) | instskip(NEXT) | instid1(SALU_CYCLE_1)
	s_mul_u64 s[12:13], s[8:9], s[44:45]
	v_or_b32_e32 v15, s13, v5
	s_delay_alu instid0(VALU_DEP_1)
	v_cmpx_ne_u64_e32 0, v[14:15]
	s_xor_b32 s3, exec_lo, s2
	s_cbranch_execz .LBB19_15
; %bb.14:
	s_ashr_i32 s14, s13, 31
	s_mov_b32 s29, 0
	s_mov_b32 s15, s14
	v_dual_mov_b32 v9, v8 :: v_dual_mov_b32 v17, v14
	s_add_nc_u64 s[20:21], s[12:13], s[14:15]
	v_mov_b32_e32 v15, v14
	s_xor_b64 s[20:21], s[20:21], s[14:15]
	s_delay_alu instid0(VALU_DEP_2) | instskip(SKIP_4) | instid1(SALU_CYCLE_1)
	v_add_nc_u64_e32 v[12:13], v[4:5], v[8:9]
	s_cvt_f32_u32 s2, s20
	s_cvt_f32_u32 s15, s21
	s_sub_nc_u64 s[24:25], 0, s[20:21]
	v_dual_mov_b32 v19, v14 :: v_dual_mov_b32 v25, v14
	s_fmamk_f32 s2, s15, 0x4f800000, s2
	s_delay_alu instid0(VALU_DEP_2) | instskip(SKIP_3) | instid1(TRANS32_DEP_1)
	v_xor_b32_e32 v16, v12, v8
	v_xor_b32_e32 v18, v13, v8
	;; [unrolled: 1-line block ×3, first 2 shown]
	v_s_rcp_f32 s2, s2
	s_mul_f32 s2, s2, 0x5f7ffffc
	s_delay_alu instid0(SALU_CYCLE_3) | instskip(NEXT) | instid1(SALU_CYCLE_3)
	s_mul_f32 s15, s2, 0x2f800000
	s_trunc_f32 s15, s15
	s_delay_alu instid0(SALU_CYCLE_3) | instskip(SKIP_1) | instid1(SALU_CYCLE_2)
	s_fmamk_f32 s2, s15, 0xcf800000, s2
	s_cvt_u32_f32 s23, s15
	s_cvt_u32_f32 s22, s2
	s_delay_alu instid0(SALU_CYCLE_3) | instskip(NEXT) | instid1(SALU_CYCLE_1)
	s_mul_u64 s[26:27], s[24:25], s[22:23]
	s_mul_hi_u32 s31, s22, s27
	s_mul_i32 s30, s22, s27
	s_mul_hi_u32 s28, s22, s26
	s_mul_i32 s15, s23, s26
	s_add_nc_u64 s[30:31], s[28:29], s[30:31]
	s_mul_hi_u32 s2, s23, s26
	s_mul_hi_u32 s33, s23, s27
	s_add_co_u32 s15, s30, s15
	s_add_co_ci_u32 s28, s31, s2
	s_mul_i32 s26, s23, s27
	s_add_co_ci_u32 s27, s33, 0
	s_delay_alu instid0(SALU_CYCLE_1) | instskip(NEXT) | instid1(SALU_CYCLE_1)
	s_add_nc_u64 s[26:27], s[28:29], s[26:27]
	s_add_co_u32 s22, s22, s26
	s_cselect_b32 s2, -1, 0
	s_delay_alu instid0(SALU_CYCLE_1) | instskip(SKIP_1) | instid1(SALU_CYCLE_1)
	s_cmp_lg_u32 s2, 0
	s_add_co_ci_u32 s23, s23, s27
	s_mul_u64 s[24:25], s[24:25], s[22:23]
	s_delay_alu instid0(SALU_CYCLE_1)
	s_mul_hi_u32 s27, s22, s25
	s_mul_i32 s26, s22, s25
	s_mul_hi_u32 s28, s22, s24
	s_mul_i32 s15, s23, s24
	s_add_nc_u64 s[26:27], s[28:29], s[26:27]
	s_mul_hi_u32 s2, s23, s24
	s_mul_hi_u32 s30, s23, s25
	s_add_co_u32 s15, s26, s15
	s_add_co_ci_u32 s28, s27, s2
	s_mul_i32 s24, s23, s25
	s_add_co_ci_u32 s25, s30, 0
	s_delay_alu instid0(SALU_CYCLE_1) | instskip(NEXT) | instid1(SALU_CYCLE_1)
	s_add_nc_u64 s[24:25], s[28:29], s[24:25]
	s_add_co_u32 s2, s22, s24
	s_cselect_b32 s15, -1, 0
	v_nop
	v_mul_hi_u32 v24, v16, s2
	s_cmp_lg_u32 s15, 0
	s_add_co_ci_u32 s28, s23, s25
	s_mov_b64 s[22:23], 0xffffffff
	v_mul_u64_e32 v[20:21], s[28:29], v[16:17]
	s_and_b64 s[22:23], s[2:3], s[22:23]
	v_mul_u64_e32 v[22:23], s[28:29], v[18:19]
	v_mul_u64_e32 v[12:13], s[22:23], v[18:19]
	s_delay_alu instid0(VALU_DEP_3) | instskip(NEXT) | instid1(VALU_DEP_1)
	v_add_nc_u64_e32 v[20:21], v[24:25], v[20:21]
	v_add_co_u32 v9, vcc_lo, v20, v12
	s_delay_alu instid0(VALU_DEP_2) | instskip(SKIP_1) | instid1(VALU_DEP_1)
	v_add_co_ci_u32_e32 v14, vcc_lo, v21, v13, vcc_lo
	v_add_co_ci_u32_e32 v23, vcc_lo, 0, v23, vcc_lo
	v_add_nc_u64_e32 v[12:13], v[14:15], v[22:23]
	s_delay_alu instid0(VALU_DEP_1) | instskip(NEXT) | instid1(VALU_DEP_1)
	v_mul_u64_e32 v[14:15], s[20:21], v[12:13]
	v_sub_nc_u32_e32 v9, v18, v15
	s_delay_alu instid0(VALU_DEP_2) | instskip(NEXT) | instid1(VALU_DEP_1)
	v_sub_co_u32 v14, vcc_lo, v16, v14
	v_sub_co_ci_u32_e64 v18, null, v18, v15, vcc_lo
	s_delay_alu instid0(VALU_DEP_3) | instskip(NEXT) | instid1(VALU_DEP_3)
	v_subrev_co_ci_u32_e64 v9, null, s21, v9, vcc_lo
	v_sub_co_u32 v16, s2, v14, s20
	s_delay_alu instid0(VALU_DEP_1) | instskip(NEXT) | instid1(VALU_DEP_2)
	v_subrev_co_ci_u32_e64 v9, null, 0, v9, s2
	v_cmp_le_u32_e32 vcc_lo, s20, v16
	v_cndmask_b32_e64 v15, 0, -1, vcc_lo
	s_delay_alu instid0(VALU_DEP_3)
	v_cmp_le_u32_e32 vcc_lo, s21, v9
	v_cndmask_b32_e64 v16, 0, -1, vcc_lo
	v_cmp_le_u32_e32 vcc_lo, s20, v14
	v_cndmask_b32_e64 v19, 0, -1, vcc_lo
	;; [unrolled: 2-line block ×3, first 2 shown]
	v_cmp_eq_u32_e32 vcc_lo, s21, v9
	v_cndmask_b32_e32 v9, v16, v15, vcc_lo
	v_cmp_eq_u32_e32 vcc_lo, s21, v18
	v_add_nc_u64_e32 v[14:15], 2, v[12:13]
	v_add_nc_u64_e32 v[16:17], 1, v[12:13]
	v_cndmask_b32_e32 v18, v20, v19, vcc_lo
	v_cmp_ne_u32_e32 vcc_lo, 0, v9
	s_delay_alu instid0(VALU_DEP_2) | instskip(NEXT) | instid1(VALU_DEP_4)
	v_cmp_ne_u32_e64 s2, 0, v18
	v_dual_cndmask_b32 v14, v16, v14 :: v_dual_cndmask_b32 v9, v17, v15
	s_delay_alu instid0(VALU_DEP_1) | instskip(SKIP_1) | instid1(VALU_DEP_2)
	v_dual_cndmask_b32 v12, v12, v14, s2 :: v_dual_cndmask_b32 v13, v13, v9, s2
	v_mov_b32_e32 v9, v8
	v_xor_b32_e32 v12, v12, v8
	s_delay_alu instid0(VALU_DEP_3) | instskip(NEXT) | instid1(VALU_DEP_1)
	v_xor_b32_e32 v13, v13, v8
	v_sub_nc_u64_e32 v[12:13], v[12:13], v[8:9]
.LBB19_15:
	s_and_not1_saveexec_b32 s2, s3
	s_cbranch_execz .LBB19_17
; %bb.16:
	v_cvt_f32_u32_e32 v8, s12
	s_sub_co_i32 s3, 0, s12
	s_delay_alu instid0(VALU_DEP_1) | instskip(SKIP_1) | instid1(TRANS32_DEP_1)
	v_rcp_iflag_f32_e32 v8, v8
	v_nop
	v_mul_f32_e32 v8, 0x4f7ffffe, v8
	s_delay_alu instid0(VALU_DEP_1) | instskip(NEXT) | instid1(VALU_DEP_1)
	v_cvt_u32_f32_e32 v8, v8
	v_mul_lo_u32 v9, s3, v8
	s_delay_alu instid0(VALU_DEP_1) | instskip(NEXT) | instid1(VALU_DEP_1)
	v_mul_hi_u32 v9, v8, v9
	v_add_nc_u32_e32 v8, v8, v9
	s_delay_alu instid0(VALU_DEP_1) | instskip(NEXT) | instid1(VALU_DEP_1)
	v_mul_hi_u32 v8, v4, v8
	v_mul_lo_u32 v9, v8, s12
	s_delay_alu instid0(VALU_DEP_1) | instskip(NEXT) | instid1(VALU_DEP_1)
	v_sub_nc_u32_e32 v9, v4, v9
	v_subrev_nc_u32_e32 v13, s12, v9
	v_cmp_le_u32_e32 vcc_lo, s12, v9
	s_delay_alu instid0(VALU_DEP_2) | instskip(NEXT) | instid1(VALU_DEP_1)
	v_dual_cndmask_b32 v9, v9, v13 :: v_dual_add_nc_u32 v12, 1, v8
	v_dual_cndmask_b32 v8, v8, v12 :: v_dual_mov_b32 v13, 0
	s_delay_alu instid0(VALU_DEP_2) | instskip(NEXT) | instid1(VALU_DEP_2)
	v_cmp_le_u32_e32 vcc_lo, s12, v9
	v_add_nc_u32_e32 v12, 1, v8
	s_delay_alu instid0(VALU_DEP_1)
	v_cndmask_b32_e32 v12, v8, v12, vcc_lo
.LBB19_17:
	s_or_b32 exec_lo, exec_lo, s2
	s_delay_alu instid0(VALU_DEP_1) | instskip(SKIP_2) | instid1(VALU_DEP_2)
	v_mul_u64_e32 v[8:9], s[12:13], v[12:13]
	s_mov_b32 s2, exec_lo
	v_mov_b32_e32 v14, 0
	v_sub_nc_u64_e32 v[8:9], v[4:5], v[8:9]
                                        ; implicit-def: $vgpr4_vgpr5
	s_delay_alu instid0(VALU_DEP_1) | instskip(NEXT) | instid1(VALU_DEP_1)
	v_or_b32_e32 v15, s9, v9
	v_cmpx_ne_u64_e32 0, v[14:15]
	s_xor_b32 s3, exec_lo, s2
	s_cbranch_execz .LBB19_19
; %bb.18:
	s_ashr_i32 s12, s9, 31
	s_mov_b32 s27, 0
	s_mov_b32 s13, s12
	v_dual_mov_b32 v19, v14 :: v_dual_ashrrev_i32 v4, 31, v9
	s_add_nc_u64 s[14:15], s[8:9], s[12:13]
	v_mov_b32_e32 v21, v14
	s_xor_b64 s[14:15], s[14:15], s[12:13]
	s_delay_alu instid0(VALU_DEP_2)
	v_mov_b32_e32 v5, v4
	s_cvt_f32_u32 s2, s14
	s_cvt_f32_u32 s13, s15
	s_sub_nc_u64 s[22:23], 0, s[14:15]
	v_mov_b32_e32 v27, v14
	v_add_nc_u64_e32 v[16:17], v[8:9], v[4:5]
	s_fmamk_f32 s2, s13, 0x4f800000, s2
	v_mov_b32_e32 v15, v14
	s_delay_alu instid0(SALU_CYCLE_2) | instskip(NEXT) | instid1(VALU_DEP_2)
	v_s_rcp_f32 s2, s2
	v_xor_b32_e32 v18, v16, v4
	s_delay_alu instid0(VALU_DEP_3) | instskip(SKIP_1) | instid1(TRANS32_DEP_1)
	v_xor_b32_e32 v20, v17, v4
	v_xor_b32_e32 v4, s12, v4
	s_mul_f32 s2, s2, 0x5f7ffffc
	s_delay_alu instid0(SALU_CYCLE_3) | instskip(NEXT) | instid1(SALU_CYCLE_3)
	s_mul_f32 s13, s2, 0x2f800000
	s_trunc_f32 s13, s13
	s_delay_alu instid0(SALU_CYCLE_3) | instskip(SKIP_1) | instid1(SALU_CYCLE_2)
	s_fmamk_f32 s2, s13, 0xcf800000, s2
	s_cvt_u32_f32 s21, s13
	s_cvt_u32_f32 s20, s2
	s_delay_alu instid0(SALU_CYCLE_3) | instskip(NEXT) | instid1(SALU_CYCLE_1)
	s_mul_u64 s[24:25], s[22:23], s[20:21]
	s_mul_hi_u32 s29, s20, s25
	s_mul_i32 s28, s20, s25
	s_mul_hi_u32 s26, s20, s24
	s_mul_i32 s13, s21, s24
	s_add_nc_u64 s[28:29], s[26:27], s[28:29]
	s_mul_hi_u32 s2, s21, s24
	s_mul_hi_u32 s30, s21, s25
	s_add_co_u32 s13, s28, s13
	s_add_co_ci_u32 s26, s29, s2
	s_mul_i32 s24, s21, s25
	s_add_co_ci_u32 s25, s30, 0
	s_delay_alu instid0(SALU_CYCLE_1) | instskip(NEXT) | instid1(SALU_CYCLE_1)
	s_add_nc_u64 s[24:25], s[26:27], s[24:25]
	s_add_co_u32 s20, s20, s24
	s_cselect_b32 s2, -1, 0
	s_delay_alu instid0(SALU_CYCLE_1) | instskip(SKIP_1) | instid1(SALU_CYCLE_1)
	s_cmp_lg_u32 s2, 0
	s_add_co_ci_u32 s21, s21, s25
	s_mul_u64 s[22:23], s[22:23], s[20:21]
	s_delay_alu instid0(SALU_CYCLE_1)
	s_mul_hi_u32 s25, s20, s23
	s_mul_i32 s24, s20, s23
	s_mul_hi_u32 s26, s20, s22
	s_mul_i32 s13, s21, s22
	s_add_nc_u64 s[24:25], s[26:27], s[24:25]
	s_mul_hi_u32 s2, s21, s22
	s_mul_hi_u32 s28, s21, s23
	s_add_co_u32 s13, s24, s13
	s_add_co_ci_u32 s26, s25, s2
	s_mul_i32 s22, s21, s23
	s_add_co_ci_u32 s23, s28, 0
	s_delay_alu instid0(SALU_CYCLE_1) | instskip(NEXT) | instid1(SALU_CYCLE_1)
	s_add_nc_u64 s[22:23], s[26:27], s[22:23]
	s_add_co_u32 s2, s20, s22
	s_cselect_b32 s13, -1, 0
	v_mul_hi_u32 v26, v18, s2
	s_cmp_lg_u32 s13, 0
	s_add_co_ci_u32 s26, s21, s23
	s_mov_b64 s[20:21], 0xffffffff
	v_mul_u64_e32 v[22:23], s[26:27], v[18:19]
	s_and_b64 s[20:21], s[2:3], s[20:21]
	v_mul_u64_e32 v[24:25], s[26:27], v[20:21]
	v_mul_u64_e32 v[16:17], s[20:21], v[20:21]
	s_delay_alu instid0(VALU_DEP_3) | instskip(NEXT) | instid1(VALU_DEP_1)
	v_add_nc_u64_e32 v[22:23], v[26:27], v[22:23]
	v_add_co_u32 v5, vcc_lo, v22, v16
	s_delay_alu instid0(VALU_DEP_2) | instskip(SKIP_1) | instid1(VALU_DEP_1)
	v_add_co_ci_u32_e32 v14, vcc_lo, v23, v17, vcc_lo
	v_add_co_ci_u32_e32 v25, vcc_lo, 0, v25, vcc_lo
	v_add_nc_u64_e32 v[14:15], v[14:15], v[24:25]
	s_delay_alu instid0(VALU_DEP_1) | instskip(NEXT) | instid1(VALU_DEP_1)
	v_mul_u64_e32 v[16:17], s[14:15], v[14:15]
	v_sub_nc_u32_e32 v5, v20, v17
	s_delay_alu instid0(VALU_DEP_2) | instskip(NEXT) | instid1(VALU_DEP_1)
	v_sub_co_u32 v16, vcc_lo, v18, v16
	v_sub_co_ci_u32_e64 v20, null, v20, v17, vcc_lo
	s_delay_alu instid0(VALU_DEP_3) | instskip(NEXT) | instid1(VALU_DEP_3)
	v_subrev_co_ci_u32_e64 v5, null, s15, v5, vcc_lo
	v_sub_co_u32 v18, s2, v16, s14
	s_delay_alu instid0(VALU_DEP_1) | instskip(NEXT) | instid1(VALU_DEP_2)
	v_subrev_co_ci_u32_e64 v5, null, 0, v5, s2
	v_cmp_le_u32_e32 vcc_lo, s14, v18
	v_cndmask_b32_e64 v17, 0, -1, vcc_lo
	s_delay_alu instid0(VALU_DEP_3)
	v_cmp_le_u32_e32 vcc_lo, s15, v5
	v_cndmask_b32_e64 v18, 0, -1, vcc_lo
	v_cmp_le_u32_e32 vcc_lo, s14, v16
	v_cndmask_b32_e64 v21, 0, -1, vcc_lo
	;; [unrolled: 2-line block ×3, first 2 shown]
	v_cmp_eq_u32_e32 vcc_lo, s15, v5
	v_cndmask_b32_e32 v5, v18, v17, vcc_lo
	v_cmp_eq_u32_e32 vcc_lo, s15, v20
	v_add_nc_u64_e32 v[16:17], 2, v[14:15]
	v_add_nc_u64_e32 v[18:19], 1, v[14:15]
	v_cndmask_b32_e32 v20, v22, v21, vcc_lo
	v_cmp_ne_u32_e32 vcc_lo, 0, v5
	s_delay_alu instid0(VALU_DEP_2) | instskip(NEXT) | instid1(VALU_DEP_4)
	v_cmp_ne_u32_e64 s2, 0, v20
	v_dual_cndmask_b32 v16, v18, v16 :: v_dual_cndmask_b32 v5, v19, v17
	s_delay_alu instid0(VALU_DEP_1) | instskip(NEXT) | instid1(VALU_DEP_1)
	v_dual_cndmask_b32 v14, v14, v16, s2 :: v_dual_cndmask_b32 v15, v15, v5, s2
	v_dual_mov_b32 v5, v4 :: v_dual_bitop2_b32 v14, v14, v4 bitop3:0x14
	s_delay_alu instid0(VALU_DEP_2) | instskip(NEXT) | instid1(VALU_DEP_1)
	v_xor_b32_e32 v15, v15, v4
	v_sub_nc_u64_e32 v[4:5], v[14:15], v[4:5]
.LBB19_19:
	s_and_not1_saveexec_b32 s2, s3
	s_cbranch_execz .LBB19_21
; %bb.20:
	v_cvt_f32_u32_e32 v4, s8
	s_sub_co_i32 s3, 0, s8
	s_delay_alu instid0(VALU_DEP_1) | instskip(SKIP_1) | instid1(TRANS32_DEP_1)
	v_rcp_iflag_f32_e32 v4, v4
	v_nop
	v_mul_f32_e32 v4, 0x4f7ffffe, v4
	s_delay_alu instid0(VALU_DEP_1) | instskip(NEXT) | instid1(VALU_DEP_1)
	v_cvt_u32_f32_e32 v4, v4
	v_mul_lo_u32 v5, s3, v4
	s_delay_alu instid0(VALU_DEP_1) | instskip(NEXT) | instid1(VALU_DEP_1)
	v_mul_hi_u32 v5, v4, v5
	v_add_nc_u32_e32 v4, v4, v5
	s_delay_alu instid0(VALU_DEP_1) | instskip(NEXT) | instid1(VALU_DEP_1)
	v_mul_hi_u32 v4, v8, v4
	v_mul_lo_u32 v5, v4, s8
	s_delay_alu instid0(VALU_DEP_1) | instskip(NEXT) | instid1(VALU_DEP_1)
	v_dual_add_nc_u32 v14, 1, v4 :: v_dual_sub_nc_u32 v5, v8, v5
	v_subrev_nc_u32_e32 v15, s8, v5
	v_cmp_le_u32_e32 vcc_lo, s8, v5
	s_delay_alu instid0(VALU_DEP_2) | instskip(NEXT) | instid1(VALU_DEP_1)
	v_dual_cndmask_b32 v5, v5, v15 :: v_dual_cndmask_b32 v4, v4, v14
	v_cmp_le_u32_e32 vcc_lo, s8, v5
	s_delay_alu instid0(VALU_DEP_2) | instskip(NEXT) | instid1(VALU_DEP_1)
	v_dual_mov_b32 v5, 0 :: v_dual_add_nc_u32 v14, 1, v4
	v_cndmask_b32_e32 v4, v4, v14, vcc_lo
.LBB19_21:
	s_or_b32 exec_lo, exec_lo, s2
	s_delay_alu instid0(VALU_DEP_1) | instskip(SKIP_1) | instid1(VALU_DEP_1)
	v_mul_u64_e32 v[14:15], s[8:9], v[4:5]
                                        ; implicit-def: $vgpr16_vgpr17
	s_mov_b32 s2, exec_lo
	v_sub_nc_u64_e32 v[8:9], v[8:9], v[14:15]
	s_delay_alu instid0(VALU_DEP_1) | instskip(NEXT) | instid1(VALU_DEP_1)
	v_dual_mov_b32 v14, 0 :: v_dual_bitop2_b32 v15, s41, v9 bitop3:0x54
	v_cmpx_ne_u64_e32 0, v[14:15]
	s_xor_b32 s3, exec_lo, s2
	s_cbranch_execz .LBB19_23
; %bb.22:
	s_ashr_i32 s8, s41, 31
	s_mov_b32 s25, 0
	s_mov_b32 s9, s8
	v_dual_mov_b32 v21, v14 :: v_dual_ashrrev_i32 v16, 31, v9
	s_add_nc_u64 s[12:13], s[40:41], s[8:9]
	v_dual_mov_b32 v29, v14 :: v_dual_mov_b32 v15, v14
	s_xor_b64 s[12:13], s[12:13], s[8:9]
	s_delay_alu instid0(VALU_DEP_2) | instskip(SKIP_3) | instid1(VALU_DEP_1)
	v_mov_b32_e32 v17, v16
	s_cvt_f32_u32 s2, s12
	s_cvt_f32_u32 s9, s13
	s_sub_nc_u64 s[20:21], 0, s[12:13]
	v_add_nc_u64_e32 v[18:19], v[8:9], v[16:17]
	s_delay_alu instid0(SALU_CYCLE_1) | instskip(SKIP_1) | instid1(SALU_CYCLE_2)
	s_fmamk_f32 s2, s9, 0x4f800000, s2
	v_mov_b32_e32 v23, v14
	v_s_rcp_f32 s2, s2
	s_delay_alu instid0(VALU_DEP_2) | instskip(NEXT) | instid1(VALU_DEP_3)
	v_xor_b32_e32 v20, v18, v16
	v_xor_b32_e32 v22, v19, v16
	;; [unrolled: 1-line block ×3, first 2 shown]
	s_delay_alu instid0(TRANS32_DEP_1) | instskip(NEXT) | instid1(SALU_CYCLE_3)
	s_mul_f32 s2, s2, 0x5f7ffffc
	s_mul_f32 s9, s2, 0x2f800000
	s_delay_alu instid0(SALU_CYCLE_3) | instskip(NEXT) | instid1(SALU_CYCLE_3)
	s_trunc_f32 s9, s9
	s_fmamk_f32 s2, s9, 0xcf800000, s2
	s_cvt_u32_f32 s15, s9
	s_delay_alu instid0(SALU_CYCLE_2) | instskip(NEXT) | instid1(SALU_CYCLE_3)
	s_cvt_u32_f32 s14, s2
	s_mul_u64 s[22:23], s[20:21], s[14:15]
	s_delay_alu instid0(SALU_CYCLE_1)
	s_mul_hi_u32 s27, s14, s23
	s_mul_i32 s26, s14, s23
	s_mul_hi_u32 s24, s14, s22
	s_mul_i32 s9, s15, s22
	s_add_nc_u64 s[26:27], s[24:25], s[26:27]
	s_mul_hi_u32 s2, s15, s22
	s_mul_hi_u32 s28, s15, s23
	s_add_co_u32 s9, s26, s9
	s_add_co_ci_u32 s24, s27, s2
	s_mul_i32 s22, s15, s23
	s_add_co_ci_u32 s23, s28, 0
	s_delay_alu instid0(SALU_CYCLE_1) | instskip(NEXT) | instid1(SALU_CYCLE_1)
	s_add_nc_u64 s[22:23], s[24:25], s[22:23]
	s_add_co_u32 s14, s14, s22
	s_cselect_b32 s2, -1, 0
	s_delay_alu instid0(SALU_CYCLE_1) | instskip(SKIP_1) | instid1(SALU_CYCLE_1)
	s_cmp_lg_u32 s2, 0
	s_add_co_ci_u32 s15, s15, s23
	s_mul_u64 s[20:21], s[20:21], s[14:15]
	s_delay_alu instid0(SALU_CYCLE_1)
	s_mul_hi_u32 s23, s14, s21
	s_mul_i32 s22, s14, s21
	s_mul_hi_u32 s24, s14, s20
	s_mul_i32 s9, s15, s20
	s_add_nc_u64 s[22:23], s[24:25], s[22:23]
	s_mul_hi_u32 s2, s15, s20
	s_mul_hi_u32 s26, s15, s21
	s_add_co_u32 s9, s22, s9
	s_add_co_ci_u32 s24, s23, s2
	s_mul_i32 s20, s15, s21
	s_add_co_ci_u32 s21, s26, 0
	s_delay_alu instid0(SALU_CYCLE_1) | instskip(NEXT) | instid1(SALU_CYCLE_1)
	s_add_nc_u64 s[20:21], s[24:25], s[20:21]
	s_add_co_u32 s2, s14, s20
	s_cselect_b32 s9, -1, 0
	v_mul_hi_u32 v28, v20, s2
	s_cmp_lg_u32 s9, 0
	s_add_co_ci_u32 s24, s15, s21
	s_mov_b64 s[14:15], 0xffffffff
	v_mul_u64_e32 v[24:25], s[24:25], v[20:21]
	s_and_b64 s[14:15], s[2:3], s[14:15]
	v_mul_u64_e32 v[26:27], s[24:25], v[22:23]
	v_mul_u64_e32 v[18:19], s[14:15], v[22:23]
	s_delay_alu instid0(VALU_DEP_3) | instskip(NEXT) | instid1(VALU_DEP_1)
	v_add_nc_u64_e32 v[24:25], v[28:29], v[24:25]
	v_add_co_u32 v14, vcc_lo, v24, v18
	s_delay_alu instid0(VALU_DEP_2) | instskip(SKIP_1) | instid1(VALU_DEP_1)
	v_add_co_ci_u32_e32 v14, vcc_lo, v25, v19, vcc_lo
	v_add_co_ci_u32_e32 v27, vcc_lo, 0, v27, vcc_lo
	v_add_nc_u64_e32 v[14:15], v[14:15], v[26:27]
	s_delay_alu instid0(VALU_DEP_1) | instskip(NEXT) | instid1(VALU_DEP_1)
	v_mul_u64_e32 v[18:19], s[12:13], v[14:15]
	v_sub_nc_u32_e32 v17, v22, v19
	s_delay_alu instid0(VALU_DEP_2) | instskip(NEXT) | instid1(VALU_DEP_1)
	v_sub_co_u32 v18, vcc_lo, v20, v18
	v_sub_co_ci_u32_e64 v22, null, v22, v19, vcc_lo
	s_delay_alu instid0(VALU_DEP_3) | instskip(NEXT) | instid1(VALU_DEP_3)
	v_subrev_co_ci_u32_e64 v17, null, s13, v17, vcc_lo
	v_sub_co_u32 v20, s2, v18, s12
	s_delay_alu instid0(VALU_DEP_1) | instskip(NEXT) | instid1(VALU_DEP_2)
	v_subrev_co_ci_u32_e64 v17, null, 0, v17, s2
	v_cmp_le_u32_e32 vcc_lo, s12, v20
	v_cndmask_b32_e64 v19, 0, -1, vcc_lo
	s_delay_alu instid0(VALU_DEP_3)
	v_cmp_le_u32_e32 vcc_lo, s13, v17
	v_cndmask_b32_e64 v20, 0, -1, vcc_lo
	v_cmp_le_u32_e32 vcc_lo, s12, v18
	v_cndmask_b32_e64 v23, 0, -1, vcc_lo
	;; [unrolled: 2-line block ×3, first 2 shown]
	v_cmp_eq_u32_e32 vcc_lo, s13, v17
	v_cndmask_b32_e32 v17, v20, v19, vcc_lo
	v_cmp_eq_u32_e32 vcc_lo, s13, v22
	v_add_nc_u64_e32 v[18:19], 2, v[14:15]
	v_add_nc_u64_e32 v[20:21], 1, v[14:15]
	v_cndmask_b32_e32 v22, v24, v23, vcc_lo
	v_cmp_ne_u32_e32 vcc_lo, 0, v17
	s_delay_alu instid0(VALU_DEP_2) | instskip(NEXT) | instid1(VALU_DEP_4)
	v_cmp_ne_u32_e64 s2, 0, v22
	v_dual_cndmask_b32 v18, v20, v18 :: v_dual_cndmask_b32 v17, v21, v19
	s_delay_alu instid0(VALU_DEP_1) | instskip(NEXT) | instid1(VALU_DEP_1)
	v_dual_cndmask_b32 v14, v14, v18, s2 :: v_dual_cndmask_b32 v15, v15, v17, s2
	v_dual_mov_b32 v17, v16 :: v_dual_bitop2_b32 v14, v14, v16 bitop3:0x14
	s_delay_alu instid0(VALU_DEP_2) | instskip(NEXT) | instid1(VALU_DEP_1)
	v_xor_b32_e32 v15, v15, v16
	v_sub_nc_u64_e32 v[16:17], v[14:15], v[16:17]
.LBB19_23:
	s_and_not1_saveexec_b32 s2, s3
	s_cbranch_execz .LBB19_25
; %bb.24:
	v_cvt_f32_u32_e32 v14, s40
	s_sub_co_i32 s3, 0, s40
	s_delay_alu instid0(VALU_DEP_1) | instskip(SKIP_1) | instid1(TRANS32_DEP_1)
	v_rcp_iflag_f32_e32 v14, v14
	v_nop
	v_mul_f32_e32 v14, 0x4f7ffffe, v14
	s_delay_alu instid0(VALU_DEP_1) | instskip(NEXT) | instid1(VALU_DEP_1)
	v_cvt_u32_f32_e32 v14, v14
	v_mul_lo_u32 v15, s3, v14
	s_delay_alu instid0(VALU_DEP_1) | instskip(NEXT) | instid1(VALU_DEP_1)
	v_mul_hi_u32 v15, v14, v15
	v_add_nc_u32_e32 v14, v14, v15
	s_delay_alu instid0(VALU_DEP_1) | instskip(NEXT) | instid1(VALU_DEP_1)
	v_mul_hi_u32 v14, v8, v14
	v_mul_lo_u32 v15, v14, s40
	s_delay_alu instid0(VALU_DEP_1) | instskip(NEXT) | instid1(VALU_DEP_1)
	v_dual_add_nc_u32 v16, 1, v14 :: v_dual_sub_nc_u32 v15, v8, v15
	v_subrev_nc_u32_e32 v17, s40, v15
	v_cmp_le_u32_e32 vcc_lo, s40, v15
	s_delay_alu instid0(VALU_DEP_2) | instskip(NEXT) | instid1(VALU_DEP_4)
	v_dual_cndmask_b32 v15, v15, v17, vcc_lo :: v_dual_mov_b32 v17, 0
	v_cndmask_b32_e32 v14, v14, v16, vcc_lo
	s_delay_alu instid0(VALU_DEP_2) | instskip(NEXT) | instid1(VALU_DEP_2)
	v_cmp_le_u32_e32 vcc_lo, s40, v15
	v_add_nc_u32_e32 v16, 1, v14
	s_delay_alu instid0(VALU_DEP_1)
	v_cndmask_b32_e32 v16, v14, v16, vcc_lo
.LBB19_25:
	s_or_b32 exec_lo, exec_lo, s2
	v_mul_u64_e32 v[14:15], s[10:11], v[10:11]
	s_load_b64 s[0:1], s[0:1], 0x80
	s_delay_alu instid0(VALU_DEP_1) | instskip(NEXT) | instid1(VALU_DEP_1)
	v_sub_nc_u64_e32 v[6:7], v[6:7], v[14:15]
	v_mad_nc_u64_u32 v[14:15], v6, s16, s[4:5]
	s_delay_alu instid0(VALU_DEP_1) | instskip(NEXT) | instid1(VALU_DEP_1)
	v_mad_u32 v7, v7, s16, v15
	v_mad_u32 v15, v6, s17, v7
	s_delay_alu instid0(VALU_DEP_1) | instskip(NEXT) | instid1(VALU_DEP_1)
	v_mad_nc_u64_u32 v[6:7], v10, s18, v[14:15]
	v_mad_u32 v7, v11, s18, v7
	s_delay_alu instid0(VALU_DEP_1) | instskip(NEXT) | instid1(VALU_DEP_1)
	v_mad_u32 v7, v10, s19, v7
	v_mad_nc_u64_u32 v[6:7], v2, s36, v[6:7]
	s_delay_alu instid0(VALU_DEP_1) | instskip(NEXT) | instid1(VALU_DEP_1)
	v_mad_u32 v3, v3, s36, v7
	v_mad_u32 v7, v2, s37, v3
	s_delay_alu instid0(VALU_DEP_1) | instskip(NEXT) | instid1(VALU_DEP_1)
	v_mad_nc_u64_u32 v[2:3], v0, s38, v[6:7]
	v_mad_u32 v1, v1, s38, v3
	s_delay_alu instid0(VALU_DEP_1) | instskip(SKIP_4) | instid1(VALU_DEP_1)
	v_mad_u32 v3, v0, s39, v1
	v_mul_u64_e32 v[0:1], s[40:41], v[16:17]
	global_load_u16 v6, v[2:3], off
	v_sub_nc_u64_e32 v[0:1], v[8:9], v[0:1]
	s_wait_xcnt 0x0
	v_mad_nc_u64_u32 v[2:3], v0, s46, s[6:7]
	s_delay_alu instid0(VALU_DEP_1) | instskip(NEXT) | instid1(VALU_DEP_1)
	v_mad_u32 v1, v1, s46, v3
	v_mad_u32 v3, v0, s47, v1
	s_delay_alu instid0(VALU_DEP_1) | instskip(NEXT) | instid1(VALU_DEP_1)
	v_mad_nc_u64_u32 v[0:1], v16, s48, v[2:3]
	v_mad_u32 v1, v17, s48, v1
	s_delay_alu instid0(VALU_DEP_1) | instskip(NEXT) | instid1(VALU_DEP_1)
	v_mad_u32 v1, v16, s49, v1
	v_mad_nc_u64_u32 v[0:1], v4, s50, v[0:1]
	s_delay_alu instid0(VALU_DEP_1) | instskip(NEXT) | instid1(VALU_DEP_1)
	v_mad_u32 v1, v5, s50, v1
	v_mad_u32 v1, v4, s51, v1
	s_wait_kmcnt 0x0
	s_delay_alu instid0(VALU_DEP_1) | instskip(NEXT) | instid1(VALU_DEP_1)
	v_mad_nc_u64_u32 v[0:1], v12, s0, v[0:1]
	v_mad_u32 v1, v13, s0, v1
	s_delay_alu instid0(VALU_DEP_1)
	v_mad_u32 v1, v12, s1, v1
	s_wait_loadcnt 0x0
	global_store_b16 v[0:1], v6, off
.LBB19_26:
	s_endpgm
	.section	.rodata,"a",@progbits
	.p2align	6, 0x0
	.amdhsa_kernel _ZL10cpy_scalarIXadL_ZL12cpy_1_scalarI6__halfS1_EvPKcPcEEEvS3_S4_lllllllllllllll
		.amdhsa_group_segment_fixed_size 0
		.amdhsa_private_segment_fixed_size 0
		.amdhsa_kernarg_size 392
		.amdhsa_user_sgpr_count 2
		.amdhsa_user_sgpr_dispatch_ptr 0
		.amdhsa_user_sgpr_queue_ptr 0
		.amdhsa_user_sgpr_kernarg_segment_ptr 1
		.amdhsa_user_sgpr_dispatch_id 0
		.amdhsa_user_sgpr_kernarg_preload_length 0
		.amdhsa_user_sgpr_kernarg_preload_offset 0
		.amdhsa_user_sgpr_private_segment_size 0
		.amdhsa_wavefront_size32 1
		.amdhsa_uses_dynamic_stack 0
		.amdhsa_enable_private_segment 0
		.amdhsa_system_sgpr_workgroup_id_x 1
		.amdhsa_system_sgpr_workgroup_id_y 0
		.amdhsa_system_sgpr_workgroup_id_z 0
		.amdhsa_system_sgpr_workgroup_info 0
		.amdhsa_system_vgpr_workitem_id 0
		.amdhsa_next_free_vgpr 30
		.amdhsa_next_free_sgpr 52
		.amdhsa_named_barrier_count 0
		.amdhsa_reserve_vcc 1
		.amdhsa_float_round_mode_32 0
		.amdhsa_float_round_mode_16_64 0
		.amdhsa_float_denorm_mode_32 3
		.amdhsa_float_denorm_mode_16_64 3
		.amdhsa_fp16_overflow 0
		.amdhsa_memory_ordered 1
		.amdhsa_forward_progress 1
		.amdhsa_inst_pref_size 40
		.amdhsa_round_robin_scheduling 0
		.amdhsa_exception_fp_ieee_invalid_op 0
		.amdhsa_exception_fp_denorm_src 0
		.amdhsa_exception_fp_ieee_div_zero 0
		.amdhsa_exception_fp_ieee_overflow 0
		.amdhsa_exception_fp_ieee_underflow 0
		.amdhsa_exception_fp_ieee_inexact 0
		.amdhsa_exception_int_div_zero 0
	.end_amdhsa_kernel
	.section	.text._ZL10cpy_scalarIXadL_ZL12cpy_1_scalarI6__halfS1_EvPKcPcEEEvS3_S4_lllllllllllllll,"axG",@progbits,_ZL10cpy_scalarIXadL_ZL12cpy_1_scalarI6__halfS1_EvPKcPcEEEvS3_S4_lllllllllllllll,comdat
.Lfunc_end19:
	.size	_ZL10cpy_scalarIXadL_ZL12cpy_1_scalarI6__halfS1_EvPKcPcEEEvS3_S4_lllllllllllllll, .Lfunc_end19-_ZL10cpy_scalarIXadL_ZL12cpy_1_scalarI6__halfS1_EvPKcPcEEEvS3_S4_lllllllllllllll
                                        ; -- End function
	.set _ZL10cpy_scalarIXadL_ZL12cpy_1_scalarI6__halfS1_EvPKcPcEEEvS3_S4_lllllllllllllll.num_vgpr, 30
	.set _ZL10cpy_scalarIXadL_ZL12cpy_1_scalarI6__halfS1_EvPKcPcEEEvS3_S4_lllllllllllllll.num_agpr, 0
	.set _ZL10cpy_scalarIXadL_ZL12cpy_1_scalarI6__halfS1_EvPKcPcEEEvS3_S4_lllllllllllllll.numbered_sgpr, 52
	.set _ZL10cpy_scalarIXadL_ZL12cpy_1_scalarI6__halfS1_EvPKcPcEEEvS3_S4_lllllllllllllll.num_named_barrier, 0
	.set _ZL10cpy_scalarIXadL_ZL12cpy_1_scalarI6__halfS1_EvPKcPcEEEvS3_S4_lllllllllllllll.private_seg_size, 0
	.set _ZL10cpy_scalarIXadL_ZL12cpy_1_scalarI6__halfS1_EvPKcPcEEEvS3_S4_lllllllllllllll.uses_vcc, 1
	.set _ZL10cpy_scalarIXadL_ZL12cpy_1_scalarI6__halfS1_EvPKcPcEEEvS3_S4_lllllllllllllll.uses_flat_scratch, 0
	.set _ZL10cpy_scalarIXadL_ZL12cpy_1_scalarI6__halfS1_EvPKcPcEEEvS3_S4_lllllllllllllll.has_dyn_sized_stack, 0
	.set _ZL10cpy_scalarIXadL_ZL12cpy_1_scalarI6__halfS1_EvPKcPcEEEvS3_S4_lllllllllllllll.has_recursion, 0
	.set _ZL10cpy_scalarIXadL_ZL12cpy_1_scalarI6__halfS1_EvPKcPcEEEvS3_S4_lllllllllllllll.has_indirect_call, 0
	.section	.AMDGPU.csdata,"",@progbits
; Kernel info:
; codeLenInByte = 5004
; TotalNumSgprs: 54
; NumVgprs: 30
; ScratchSize: 0
; MemoryBound: 0
; FloatMode: 240
; IeeeMode: 1
; LDSByteSize: 0 bytes/workgroup (compile time only)
; SGPRBlocks: 0
; VGPRBlocks: 1
; NumSGPRsForWavesPerEU: 54
; NumVGPRsForWavesPerEU: 30
; NamedBarCnt: 0
; Occupancy: 16
; WaveLimiterHint : 0
; COMPUTE_PGM_RSRC2:SCRATCH_EN: 0
; COMPUTE_PGM_RSRC2:USER_SGPR: 2
; COMPUTE_PGM_RSRC2:TRAP_HANDLER: 0
; COMPUTE_PGM_RSRC2:TGID_X_EN: 1
; COMPUTE_PGM_RSRC2:TGID_Y_EN: 0
; COMPUTE_PGM_RSRC2:TGID_Z_EN: 0
; COMPUTE_PGM_RSRC2:TIDIG_COMP_CNT: 0
	.section	.text._ZL21cpy_scalar_contiguousI6__half14__hip_bfloat16EvPKcPcl,"axG",@progbits,_ZL21cpy_scalar_contiguousI6__half14__hip_bfloat16EvPKcPcl,comdat
	.globl	_ZL21cpy_scalar_contiguousI6__half14__hip_bfloat16EvPKcPcl ; -- Begin function _ZL21cpy_scalar_contiguousI6__half14__hip_bfloat16EvPKcPcl
	.p2align	8
	.type	_ZL21cpy_scalar_contiguousI6__half14__hip_bfloat16EvPKcPcl,@function
_ZL21cpy_scalar_contiguousI6__half14__hip_bfloat16EvPKcPcl: ; @_ZL21cpy_scalar_contiguousI6__half14__hip_bfloat16EvPKcPcl
; %bb.0:
	s_clause 0x1
	s_load_b32 s4, s[0:1], 0x24
	s_load_b64 s[2:3], s[0:1], 0x10
	s_bfe_u32 s5, ttmp6, 0x4000c
	s_and_b32 s6, ttmp6, 15
	s_add_co_i32 s5, s5, 1
	s_getreg_b32 s7, hwreg(HW_REG_IB_STS2, 6, 4)
	s_mul_i32 s5, ttmp9, s5
	v_mov_b32_e32 v1, 0
	s_add_co_i32 s6, s6, s5
	s_wait_kmcnt 0x0
	s_and_b32 s4, s4, 0xffff
	s_cmp_eq_u32 s7, 0
	s_cselect_b32 s5, ttmp9, s6
	s_delay_alu instid0(SALU_CYCLE_1) | instskip(NEXT) | instid1(VALU_DEP_1)
	v_mad_nc_u64_u32 v[0:1], s4, s5, v[0:1]
	v_cmp_gt_i64_e32 vcc_lo, s[2:3], v[0:1]
	s_and_saveexec_b32 s2, vcc_lo
	s_cbranch_execz .LBB20_2
; %bb.1:
	s_load_b128 s[0:3], s[0:1], 0x0
	v_lshlrev_b64_e32 v[0:1], 1, v[0:1]
	s_wait_kmcnt 0x0
	s_delay_alu instid0(VALU_DEP_1) | instskip(SKIP_4) | instid1(VALU_DEP_1)
	v_add_nc_u64_e32 v[2:3], s[0:1], v[0:1]
	v_add_nc_u64_e32 v[0:1], s[2:3], v[0:1]
	global_load_u16 v2, v[2:3], off
	s_wait_loadcnt 0x0
	v_cvt_f32_f16_e32 v2, v2
	v_cvt_pk_bf16_f32 v2, v2, s0
	global_store_b16 v[0:1], v2, off
.LBB20_2:
	s_endpgm
	.section	.rodata,"a",@progbits
	.p2align	6, 0x0
	.amdhsa_kernel _ZL21cpy_scalar_contiguousI6__half14__hip_bfloat16EvPKcPcl
		.amdhsa_group_segment_fixed_size 0
		.amdhsa_private_segment_fixed_size 0
		.amdhsa_kernarg_size 280
		.amdhsa_user_sgpr_count 2
		.amdhsa_user_sgpr_dispatch_ptr 0
		.amdhsa_user_sgpr_queue_ptr 0
		.amdhsa_user_sgpr_kernarg_segment_ptr 1
		.amdhsa_user_sgpr_dispatch_id 0
		.amdhsa_user_sgpr_kernarg_preload_length 0
		.amdhsa_user_sgpr_kernarg_preload_offset 0
		.amdhsa_user_sgpr_private_segment_size 0
		.amdhsa_wavefront_size32 1
		.amdhsa_uses_dynamic_stack 0
		.amdhsa_enable_private_segment 0
		.amdhsa_system_sgpr_workgroup_id_x 1
		.amdhsa_system_sgpr_workgroup_id_y 0
		.amdhsa_system_sgpr_workgroup_id_z 0
		.amdhsa_system_sgpr_workgroup_info 0
		.amdhsa_system_vgpr_workitem_id 0
		.amdhsa_next_free_vgpr 4
		.amdhsa_next_free_sgpr 8
		.amdhsa_named_barrier_count 0
		.amdhsa_reserve_vcc 1
		.amdhsa_float_round_mode_32 0
		.amdhsa_float_round_mode_16_64 0
		.amdhsa_float_denorm_mode_32 3
		.amdhsa_float_denorm_mode_16_64 3
		.amdhsa_fp16_overflow 0
		.amdhsa_memory_ordered 1
		.amdhsa_forward_progress 1
		.amdhsa_inst_pref_size 2
		.amdhsa_round_robin_scheduling 0
		.amdhsa_exception_fp_ieee_invalid_op 0
		.amdhsa_exception_fp_denorm_src 0
		.amdhsa_exception_fp_ieee_div_zero 0
		.amdhsa_exception_fp_ieee_overflow 0
		.amdhsa_exception_fp_ieee_underflow 0
		.amdhsa_exception_fp_ieee_inexact 0
		.amdhsa_exception_int_div_zero 0
	.end_amdhsa_kernel
	.section	.text._ZL21cpy_scalar_contiguousI6__half14__hip_bfloat16EvPKcPcl,"axG",@progbits,_ZL21cpy_scalar_contiguousI6__half14__hip_bfloat16EvPKcPcl,comdat
.Lfunc_end20:
	.size	_ZL21cpy_scalar_contiguousI6__half14__hip_bfloat16EvPKcPcl, .Lfunc_end20-_ZL21cpy_scalar_contiguousI6__half14__hip_bfloat16EvPKcPcl
                                        ; -- End function
	.set _ZL21cpy_scalar_contiguousI6__half14__hip_bfloat16EvPKcPcl.num_vgpr, 4
	.set _ZL21cpy_scalar_contiguousI6__half14__hip_bfloat16EvPKcPcl.num_agpr, 0
	.set _ZL21cpy_scalar_contiguousI6__half14__hip_bfloat16EvPKcPcl.numbered_sgpr, 8
	.set _ZL21cpy_scalar_contiguousI6__half14__hip_bfloat16EvPKcPcl.num_named_barrier, 0
	.set _ZL21cpy_scalar_contiguousI6__half14__hip_bfloat16EvPKcPcl.private_seg_size, 0
	.set _ZL21cpy_scalar_contiguousI6__half14__hip_bfloat16EvPKcPcl.uses_vcc, 1
	.set _ZL21cpy_scalar_contiguousI6__half14__hip_bfloat16EvPKcPcl.uses_flat_scratch, 0
	.set _ZL21cpy_scalar_contiguousI6__half14__hip_bfloat16EvPKcPcl.has_dyn_sized_stack, 0
	.set _ZL21cpy_scalar_contiguousI6__half14__hip_bfloat16EvPKcPcl.has_recursion, 0
	.set _ZL21cpy_scalar_contiguousI6__half14__hip_bfloat16EvPKcPcl.has_indirect_call, 0
	.section	.AMDGPU.csdata,"",@progbits
; Kernel info:
; codeLenInByte = 168
; TotalNumSgprs: 10
; NumVgprs: 4
; ScratchSize: 0
; MemoryBound: 0
; FloatMode: 240
; IeeeMode: 1
; LDSByteSize: 0 bytes/workgroup (compile time only)
; SGPRBlocks: 0
; VGPRBlocks: 0
; NumSGPRsForWavesPerEU: 10
; NumVGPRsForWavesPerEU: 4
; NamedBarCnt: 0
; Occupancy: 16
; WaveLimiterHint : 0
; COMPUTE_PGM_RSRC2:SCRATCH_EN: 0
; COMPUTE_PGM_RSRC2:USER_SGPR: 2
; COMPUTE_PGM_RSRC2:TRAP_HANDLER: 0
; COMPUTE_PGM_RSRC2:TGID_X_EN: 1
; COMPUTE_PGM_RSRC2:TGID_Y_EN: 0
; COMPUTE_PGM_RSRC2:TGID_Z_EN: 0
; COMPUTE_PGM_RSRC2:TIDIG_COMP_CNT: 0
	.section	.text._ZL10cpy_scalarIXadL_ZL12cpy_1_scalarI6__half14__hip_bfloat16EvPKcPcEEEvS4_S5_lllllllllllllll,"axG",@progbits,_ZL10cpy_scalarIXadL_ZL12cpy_1_scalarI6__half14__hip_bfloat16EvPKcPcEEEvS4_S5_lllllllllllllll,comdat
	.globl	_ZL10cpy_scalarIXadL_ZL12cpy_1_scalarI6__half14__hip_bfloat16EvPKcPcEEEvS4_S5_lllllllllllllll ; -- Begin function _ZL10cpy_scalarIXadL_ZL12cpy_1_scalarI6__half14__hip_bfloat16EvPKcPcEEEvS4_S5_lllllllllllllll
	.p2align	8
	.type	_ZL10cpy_scalarIXadL_ZL12cpy_1_scalarI6__half14__hip_bfloat16EvPKcPcEEEvS4_S5_lllllllllllllll,@function
_ZL10cpy_scalarIXadL_ZL12cpy_1_scalarI6__half14__hip_bfloat16EvPKcPcEEEvS4_S5_lllllllllllllll: ; @_ZL10cpy_scalarIXadL_ZL12cpy_1_scalarI6__half14__hip_bfloat16EvPKcPcEEEvS4_S5_lllllllllllllll
; %bb.0:
	s_load_b32 s2, s[0:1], 0x94
	s_bfe_u32 s4, ttmp6, 0x4000c
	v_mov_b32_e32 v2, 0
	s_add_co_i32 s21, s4, 1
	s_load_b512 s[4:19], s[0:1], 0x0
	s_and_b32 s3, ttmp6, 15
	s_mul_i32 s21, ttmp9, s21
	s_getreg_b32 s20, hwreg(HW_REG_IB_STS2, 6, 4)
	v_mov_b32_e32 v1, v2
	s_add_co_i32 s3, s3, s21
	s_wait_kmcnt 0x0
	s_and_b32 s2, s2, 0xffff
	s_cmp_eq_u32 s20, 0
	s_cselect_b32 s3, ttmp9, s3
	s_delay_alu instid0(SALU_CYCLE_1) | instskip(SKIP_1) | instid1(VALU_DEP_1)
	v_mad_nc_u64_u32 v[4:5], s2, s3, v[0:1]
	s_mov_b32 s2, exec_lo
	v_cmpx_gt_i64_e64 s[8:9], v[4:5]
	s_cbranch_execz .LBB21_26
; %bb.1:
	s_mul_u64 s[8:9], s[12:13], s[10:11]
                                        ; implicit-def: $vgpr0_vgpr1
	s_mov_b32 s2, exec_lo
	s_mul_u64 s[12:13], s[8:9], s[14:15]
	s_delay_alu instid0(SALU_CYCLE_1) | instskip(NEXT) | instid1(VALU_DEP_1)
	v_dual_ashrrev_i32 v8, 31, v5 :: v_dual_bitop2_b32 v3, s13, v5 bitop3:0x54
	v_cmpx_ne_u64_e32 0, v[2:3]
	s_xor_b32 s3, exec_lo, s2
	s_cbranch_execz .LBB21_3
; %bb.2:
	s_ashr_i32 s14, s13, 31
	s_mov_b32 s29, 0
	s_mov_b32 s15, s14
	v_dual_mov_b32 v9, v8 :: v_dual_mov_b32 v3, 0
	s_add_nc_u64 s[20:21], s[12:13], s[14:15]
	s_delay_alu instid0(SALU_CYCLE_1) | instskip(NEXT) | instid1(VALU_DEP_1)
	s_xor_b64 s[20:21], s[20:21], s[14:15]
	v_add_nc_u64_e32 v[0:1], v[4:5], v[8:9]
	s_cvt_f32_u32 s2, s20
	s_cvt_f32_u32 s15, s21
	s_sub_nc_u64 s[24:25], 0, s[20:21]
	v_dual_mov_b32 v7, v3 :: v_dual_mov_b32 v15, v3
	s_delay_alu instid0(SALU_CYCLE_1) | instskip(NEXT) | instid1(VALU_DEP_2)
	s_fmamk_f32 s2, s15, 0x4f800000, s2
	v_xor_b32_e32 v2, v0, v8
	v_xor_b32_e32 v6, v1, v8
	s_delay_alu instid0(SALU_CYCLE_1) | instskip(NEXT) | instid1(TRANS32_DEP_1)
	v_s_rcp_f32 s2, s2
	s_mul_f32 s2, s2, 0x5f7ffffc
	s_delay_alu instid0(SALU_CYCLE_3) | instskip(NEXT) | instid1(SALU_CYCLE_3)
	s_mul_f32 s15, s2, 0x2f800000
	s_trunc_f32 s15, s15
	s_delay_alu instid0(SALU_CYCLE_3) | instskip(SKIP_1) | instid1(SALU_CYCLE_2)
	s_fmamk_f32 s2, s15, 0xcf800000, s2
	s_cvt_u32_f32 s23, s15
	s_cvt_u32_f32 s22, s2
	s_delay_alu instid0(SALU_CYCLE_3) | instskip(NEXT) | instid1(SALU_CYCLE_1)
	s_mul_u64 s[26:27], s[24:25], s[22:23]
	s_mul_hi_u32 s31, s22, s27
	s_mul_i32 s30, s22, s27
	s_mul_hi_u32 s28, s22, s26
	s_mul_i32 s15, s23, s26
	s_add_nc_u64 s[30:31], s[28:29], s[30:31]
	s_mul_hi_u32 s2, s23, s26
	s_mul_hi_u32 s33, s23, s27
	s_add_co_u32 s15, s30, s15
	s_add_co_ci_u32 s28, s31, s2
	s_mul_i32 s26, s23, s27
	s_add_co_ci_u32 s27, s33, 0
	s_delay_alu instid0(SALU_CYCLE_1) | instskip(NEXT) | instid1(SALU_CYCLE_1)
	s_add_nc_u64 s[26:27], s[28:29], s[26:27]
	s_add_co_u32 s22, s22, s26
	s_cselect_b32 s2, -1, 0
	s_delay_alu instid0(SALU_CYCLE_1) | instskip(SKIP_1) | instid1(SALU_CYCLE_1)
	s_cmp_lg_u32 s2, 0
	s_add_co_ci_u32 s23, s23, s27
	s_mul_u64 s[24:25], s[24:25], s[22:23]
	s_delay_alu instid0(SALU_CYCLE_1)
	s_mul_hi_u32 s27, s22, s25
	s_mul_i32 s26, s22, s25
	s_mul_hi_u32 s28, s22, s24
	s_mul_i32 s15, s23, s24
	s_add_nc_u64 s[26:27], s[28:29], s[26:27]
	s_mul_hi_u32 s2, s23, s24
	s_mul_hi_u32 s30, s23, s25
	s_add_co_u32 s15, s26, s15
	s_add_co_ci_u32 s28, s27, s2
	s_mul_i32 s24, s23, s25
	s_add_co_ci_u32 s25, s30, 0
	s_delay_alu instid0(SALU_CYCLE_1) | instskip(NEXT) | instid1(SALU_CYCLE_1)
	s_add_nc_u64 s[24:25], s[28:29], s[24:25]
	s_add_co_u32 s2, s22, s24
	s_cselect_b32 s15, -1, 0
	v_nop
	v_mul_hi_u32 v14, v2, s2
	s_cmp_lg_u32 s15, 0
	s_add_co_ci_u32 s28, s23, s25
	s_mov_b64 s[22:23], 0xffffffff
	v_mul_u64_e32 v[10:11], s[28:29], v[2:3]
	s_and_b64 s[22:23], s[2:3], s[22:23]
	v_mul_u64_e32 v[12:13], s[28:29], v[6:7]
	v_mul_u64_e32 v[0:1], s[22:23], v[6:7]
	s_delay_alu instid0(VALU_DEP_3) | instskip(NEXT) | instid1(VALU_DEP_1)
	v_add_nc_u64_e32 v[10:11], v[14:15], v[10:11]
	v_add_co_u32 v0, vcc_lo, v10, v0
	s_delay_alu instid0(VALU_DEP_2) | instskip(SKIP_1) | instid1(VALU_DEP_1)
	v_add_co_ci_u32_e32 v14, vcc_lo, v11, v1, vcc_lo
	v_add_co_ci_u32_e32 v13, vcc_lo, 0, v13, vcc_lo
	v_add_nc_u64_e32 v[0:1], v[14:15], v[12:13]
	s_delay_alu instid0(VALU_DEP_1) | instskip(NEXT) | instid1(VALU_DEP_1)
	v_mul_u64_e32 v[10:11], s[20:21], v[0:1]
	v_sub_nc_u32_e32 v3, v6, v11
	s_delay_alu instid0(VALU_DEP_2) | instskip(NEXT) | instid1(VALU_DEP_1)
	v_sub_co_u32 v2, vcc_lo, v2, v10
	v_sub_co_ci_u32_e64 v9, null, v6, v11, vcc_lo
	s_delay_alu instid0(VALU_DEP_3) | instskip(NEXT) | instid1(VALU_DEP_3)
	v_subrev_co_ci_u32_e64 v3, null, s21, v3, vcc_lo
	v_sub_co_u32 v7, s2, v2, s20
	s_delay_alu instid0(VALU_DEP_1) | instskip(NEXT) | instid1(VALU_DEP_2)
	v_subrev_co_ci_u32_e64 v3, null, 0, v3, s2
	v_cmp_le_u32_e32 vcc_lo, s20, v7
	v_cndmask_b32_e64 v6, 0, -1, vcc_lo
	s_delay_alu instid0(VALU_DEP_3)
	v_cmp_le_u32_e32 vcc_lo, s21, v3
	v_cndmask_b32_e64 v7, 0, -1, vcc_lo
	v_cmp_le_u32_e32 vcc_lo, s20, v2
	v_cndmask_b32_e64 v10, 0, -1, vcc_lo
	;; [unrolled: 2-line block ×3, first 2 shown]
	v_cmp_eq_u32_e32 vcc_lo, s21, v3
	v_add_nc_u64_e32 v[2:3], 2, v[0:1]
	v_cndmask_b32_e32 v12, v7, v6, vcc_lo
	v_cmp_eq_u32_e32 vcc_lo, s21, v9
	v_add_nc_u64_e32 v[6:7], 1, v[0:1]
	v_cndmask_b32_e32 v9, v11, v10, vcc_lo
	s_delay_alu instid0(VALU_DEP_4) | instskip(NEXT) | instid1(VALU_DEP_3)
	v_cmp_ne_u32_e32 vcc_lo, 0, v12
	v_dual_cndmask_b32 v3, v7, v3 :: v_dual_cndmask_b32 v6, v6, v2
	v_xor_b32_e32 v2, s14, v8
	s_delay_alu instid0(VALU_DEP_4) | instskip(NEXT) | instid1(VALU_DEP_1)
	v_cmp_ne_u32_e64 s2, 0, v9
	v_dual_cndmask_b32 v1, v1, v3, s2 :: v_dual_cndmask_b32 v0, v0, v6, s2
	s_delay_alu instid0(VALU_DEP_1) | instskip(NEXT) | instid1(VALU_DEP_2)
	v_dual_mov_b32 v3, v2 :: v_dual_bitop2_b32 v1, v1, v2 bitop3:0x14
	v_xor_b32_e32 v0, v0, v2
	s_delay_alu instid0(VALU_DEP_1)
	v_sub_nc_u64_e32 v[0:1], v[0:1], v[2:3]
.LBB21_3:
	s_and_not1_saveexec_b32 s2, s3
	s_cbranch_execz .LBB21_5
; %bb.4:
	v_cvt_f32_u32_e32 v0, s12
	s_sub_co_i32 s3, 0, s12
	s_delay_alu instid0(VALU_DEP_1) | instskip(SKIP_1) | instid1(TRANS32_DEP_1)
	v_rcp_iflag_f32_e32 v0, v0
	v_nop
	v_mul_f32_e32 v0, 0x4f7ffffe, v0
	s_delay_alu instid0(VALU_DEP_1) | instskip(NEXT) | instid1(VALU_DEP_1)
	v_cvt_u32_f32_e32 v0, v0
	v_mul_lo_u32 v1, s3, v0
	s_delay_alu instid0(VALU_DEP_1) | instskip(NEXT) | instid1(VALU_DEP_1)
	v_mul_hi_u32 v1, v0, v1
	v_add_nc_u32_e32 v0, v0, v1
	s_delay_alu instid0(VALU_DEP_1) | instskip(NEXT) | instid1(VALU_DEP_1)
	v_mul_hi_u32 v0, v4, v0
	v_mul_lo_u32 v1, v0, s12
	s_delay_alu instid0(VALU_DEP_1) | instskip(NEXT) | instid1(VALU_DEP_1)
	v_dual_add_nc_u32 v2, 1, v0 :: v_dual_sub_nc_u32 v1, v4, v1
	v_subrev_nc_u32_e32 v3, s12, v1
	v_cmp_le_u32_e32 vcc_lo, s12, v1
	s_delay_alu instid0(VALU_DEP_2) | instskip(NEXT) | instid1(VALU_DEP_1)
	v_dual_cndmask_b32 v1, v1, v3 :: v_dual_cndmask_b32 v0, v0, v2
	v_cmp_le_u32_e32 vcc_lo, s12, v1
	s_delay_alu instid0(VALU_DEP_2) | instskip(NEXT) | instid1(VALU_DEP_1)
	v_dual_mov_b32 v1, 0 :: v_dual_add_nc_u32 v2, 1, v0
	v_cndmask_b32_e32 v0, v0, v2, vcc_lo
.LBB21_5:
	s_or_b32 exec_lo, exec_lo, s2
	s_delay_alu instid0(VALU_DEP_1) | instskip(SKIP_2) | instid1(VALU_DEP_2)
	v_mul_u64_e32 v[2:3], s[12:13], v[0:1]
	s_mov_b32 s2, exec_lo
	v_mov_b32_e32 v10, 0
	v_sub_nc_u64_e32 v[6:7], v[4:5], v[2:3]
                                        ; implicit-def: $vgpr2_vgpr3
	s_delay_alu instid0(VALU_DEP_1) | instskip(NEXT) | instid1(VALU_DEP_1)
	v_or_b32_e32 v11, s9, v7
	v_cmpx_ne_u64_e32 0, v[10:11]
	s_xor_b32 s3, exec_lo, s2
	s_cbranch_execz .LBB21_7
; %bb.6:
	s_ashr_i32 s12, s9, 31
	s_mov_b32 s27, 0
	s_mov_b32 s13, s12
	v_dual_mov_b32 v15, v10 :: v_dual_ashrrev_i32 v2, 31, v7
	s_add_nc_u64 s[14:15], s[8:9], s[12:13]
	v_dual_mov_b32 v23, v10 :: v_dual_mov_b32 v11, v10
	s_xor_b64 s[14:15], s[14:15], s[12:13]
	s_delay_alu instid0(VALU_DEP_2) | instskip(SKIP_3) | instid1(VALU_DEP_1)
	v_mov_b32_e32 v3, v2
	s_cvt_f32_u32 s2, s14
	s_cvt_f32_u32 s13, s15
	s_sub_nc_u64 s[22:23], 0, s[14:15]
	v_add_nc_u64_e32 v[12:13], v[6:7], v[2:3]
	s_delay_alu instid0(SALU_CYCLE_1) | instskip(SKIP_1) | instid1(SALU_CYCLE_2)
	s_fmamk_f32 s2, s13, 0x4f800000, s2
	v_mov_b32_e32 v17, v10
	v_s_rcp_f32 s2, s2
	s_delay_alu instid0(VALU_DEP_2) | instskip(NEXT) | instid1(VALU_DEP_3)
	v_xor_b32_e32 v14, v12, v2
	v_xor_b32_e32 v16, v13, v2
	v_xor_b32_e32 v2, s12, v2
	s_delay_alu instid0(TRANS32_DEP_1) | instskip(NEXT) | instid1(SALU_CYCLE_3)
	s_mul_f32 s2, s2, 0x5f7ffffc
	s_mul_f32 s13, s2, 0x2f800000
	s_delay_alu instid0(SALU_CYCLE_3) | instskip(NEXT) | instid1(SALU_CYCLE_3)
	s_trunc_f32 s13, s13
	s_fmamk_f32 s2, s13, 0xcf800000, s2
	s_cvt_u32_f32 s21, s13
	s_delay_alu instid0(SALU_CYCLE_2) | instskip(NEXT) | instid1(SALU_CYCLE_3)
	s_cvt_u32_f32 s20, s2
	s_mul_u64 s[24:25], s[22:23], s[20:21]
	s_delay_alu instid0(SALU_CYCLE_1)
	s_mul_hi_u32 s29, s20, s25
	s_mul_i32 s28, s20, s25
	s_mul_hi_u32 s26, s20, s24
	s_mul_i32 s13, s21, s24
	s_add_nc_u64 s[28:29], s[26:27], s[28:29]
	s_mul_hi_u32 s2, s21, s24
	s_mul_hi_u32 s30, s21, s25
	s_add_co_u32 s13, s28, s13
	s_add_co_ci_u32 s26, s29, s2
	s_mul_i32 s24, s21, s25
	s_add_co_ci_u32 s25, s30, 0
	s_delay_alu instid0(SALU_CYCLE_1) | instskip(NEXT) | instid1(SALU_CYCLE_1)
	s_add_nc_u64 s[24:25], s[26:27], s[24:25]
	s_add_co_u32 s20, s20, s24
	s_cselect_b32 s2, -1, 0
	s_delay_alu instid0(SALU_CYCLE_1) | instskip(SKIP_1) | instid1(SALU_CYCLE_1)
	s_cmp_lg_u32 s2, 0
	s_add_co_ci_u32 s21, s21, s25
	s_mul_u64 s[22:23], s[22:23], s[20:21]
	s_delay_alu instid0(SALU_CYCLE_1)
	s_mul_hi_u32 s25, s20, s23
	s_mul_i32 s24, s20, s23
	s_mul_hi_u32 s26, s20, s22
	s_mul_i32 s13, s21, s22
	s_add_nc_u64 s[24:25], s[26:27], s[24:25]
	s_mul_hi_u32 s2, s21, s22
	s_mul_hi_u32 s28, s21, s23
	s_add_co_u32 s13, s24, s13
	s_add_co_ci_u32 s26, s25, s2
	s_mul_i32 s22, s21, s23
	s_add_co_ci_u32 s23, s28, 0
	s_delay_alu instid0(SALU_CYCLE_1) | instskip(NEXT) | instid1(SALU_CYCLE_1)
	s_add_nc_u64 s[22:23], s[26:27], s[22:23]
	s_add_co_u32 s2, s20, s22
	s_cselect_b32 s13, -1, 0
	v_mul_hi_u32 v22, v14, s2
	s_cmp_lg_u32 s13, 0
	s_add_co_ci_u32 s26, s21, s23
	s_mov_b64 s[20:21], 0xffffffff
	v_mul_u64_e32 v[18:19], s[26:27], v[14:15]
	s_and_b64 s[20:21], s[2:3], s[20:21]
	v_mul_u64_e32 v[20:21], s[26:27], v[16:17]
	v_mul_u64_e32 v[12:13], s[20:21], v[16:17]
	s_delay_alu instid0(VALU_DEP_3) | instskip(NEXT) | instid1(VALU_DEP_1)
	v_add_nc_u64_e32 v[18:19], v[22:23], v[18:19]
	v_add_co_u32 v3, vcc_lo, v18, v12
	s_delay_alu instid0(VALU_DEP_2) | instskip(SKIP_1) | instid1(VALU_DEP_1)
	v_add_co_ci_u32_e32 v10, vcc_lo, v19, v13, vcc_lo
	v_add_co_ci_u32_e32 v21, vcc_lo, 0, v21, vcc_lo
	v_add_nc_u64_e32 v[10:11], v[10:11], v[20:21]
	s_delay_alu instid0(VALU_DEP_1) | instskip(NEXT) | instid1(VALU_DEP_1)
	v_mul_u64_e32 v[12:13], s[14:15], v[10:11]
	v_sub_co_u32 v9, vcc_lo, v14, v12
	v_add_nc_u64_e32 v[14:15], 1, v[10:11]
	s_delay_alu instid0(VALU_DEP_3) | instskip(SKIP_1) | instid1(VALU_DEP_4)
	v_sub_nc_u32_e32 v3, v16, v13
	v_sub_co_ci_u32_e64 v16, null, v16, v13, vcc_lo
	v_sub_co_u32 v12, s2, v9, s14
	s_delay_alu instid0(VALU_DEP_3) | instskip(NEXT) | instid1(VALU_DEP_2)
	v_subrev_co_ci_u32_e64 v3, null, s15, v3, vcc_lo
	v_cmp_le_u32_e32 vcc_lo, s14, v12
	s_delay_alu instid0(VALU_DEP_2) | instskip(SKIP_1) | instid1(VALU_DEP_2)
	v_subrev_co_ci_u32_e64 v3, null, 0, v3, s2
	v_cndmask_b32_e64 v12, 0, -1, vcc_lo
	v_cmp_le_u32_e32 vcc_lo, s15, v3
	v_cndmask_b32_e64 v13, 0, -1, vcc_lo
	v_cmp_le_u32_e32 vcc_lo, s14, v9
	;; [unrolled: 2-line block ×3, first 2 shown]
	v_cndmask_b32_e64 v17, 0, -1, vcc_lo
	v_cmp_eq_u32_e32 vcc_lo, s15, v3
	v_cndmask_b32_e32 v3, v13, v12, vcc_lo
	v_cmp_eq_u32_e32 vcc_lo, s15, v16
	v_add_nc_u64_e32 v[12:13], 2, v[10:11]
	v_cndmask_b32_e32 v9, v17, v9, vcc_lo
	s_delay_alu instid0(VALU_DEP_4) | instskip(NEXT) | instid1(VALU_DEP_2)
	v_cmp_ne_u32_e32 vcc_lo, 0, v3
	v_cmp_ne_u32_e64 s2, 0, v9
	s_delay_alu instid0(VALU_DEP_4) | instskip(NEXT) | instid1(VALU_DEP_1)
	v_cndmask_b32_e32 v9, v14, v12, vcc_lo
	v_cndmask_b32_e64 v9, v10, v9, s2
	s_delay_alu instid0(VALU_DEP_1) | instskip(NEXT) | instid1(VALU_DEP_1)
	v_dual_cndmask_b32 v3, v15, v13, vcc_lo :: v_dual_bitop2_b32 v10, v9, v2 bitop3:0x14
	v_dual_cndmask_b32 v11, v11, v3, s2 :: v_dual_mov_b32 v3, v2
	s_delay_alu instid0(VALU_DEP_1) | instskip(NEXT) | instid1(VALU_DEP_1)
	v_xor_b32_e32 v11, v11, v2
	v_sub_nc_u64_e32 v[2:3], v[10:11], v[2:3]
.LBB21_7:
	s_and_not1_saveexec_b32 s2, s3
	s_cbranch_execz .LBB21_9
; %bb.8:
	v_cvt_f32_u32_e32 v2, s8
	s_sub_co_i32 s3, 0, s8
	s_delay_alu instid0(VALU_DEP_1) | instskip(SKIP_1) | instid1(TRANS32_DEP_1)
	v_rcp_iflag_f32_e32 v2, v2
	v_nop
	v_mul_f32_e32 v2, 0x4f7ffffe, v2
	s_delay_alu instid0(VALU_DEP_1) | instskip(NEXT) | instid1(VALU_DEP_1)
	v_cvt_u32_f32_e32 v2, v2
	v_mul_lo_u32 v3, s3, v2
	s_delay_alu instid0(VALU_DEP_1) | instskip(NEXT) | instid1(VALU_DEP_1)
	v_mul_hi_u32 v3, v2, v3
	v_add_nc_u32_e32 v2, v2, v3
	s_delay_alu instid0(VALU_DEP_1) | instskip(NEXT) | instid1(VALU_DEP_1)
	v_mul_hi_u32 v2, v6, v2
	v_mul_lo_u32 v3, v2, s8
	s_delay_alu instid0(VALU_DEP_1) | instskip(NEXT) | instid1(VALU_DEP_1)
	v_dual_add_nc_u32 v9, 1, v2 :: v_dual_sub_nc_u32 v3, v6, v3
	v_subrev_nc_u32_e32 v10, s8, v3
	v_cmp_le_u32_e32 vcc_lo, s8, v3
	s_delay_alu instid0(VALU_DEP_2) | instskip(NEXT) | instid1(VALU_DEP_1)
	v_dual_cndmask_b32 v3, v3, v10 :: v_dual_cndmask_b32 v2, v2, v9
	v_cmp_le_u32_e32 vcc_lo, s8, v3
	s_delay_alu instid0(VALU_DEP_2) | instskip(NEXT) | instid1(VALU_DEP_1)
	v_dual_add_nc_u32 v9, 1, v2 :: v_dual_mov_b32 v3, 0
	v_cndmask_b32_e32 v2, v2, v9, vcc_lo
.LBB21_9:
	s_or_b32 exec_lo, exec_lo, s2
	s_delay_alu instid0(VALU_DEP_1) | instskip(SKIP_2) | instid1(VALU_DEP_2)
	v_mul_u64_e32 v[10:11], s[8:9], v[2:3]
	s_mov_b32 s2, exec_lo
	v_mov_b32_e32 v12, 0
	v_sub_nc_u64_e32 v[6:7], v[6:7], v[10:11]
                                        ; implicit-def: $vgpr10_vgpr11
	s_delay_alu instid0(VALU_DEP_1) | instskip(NEXT) | instid1(VALU_DEP_1)
	v_or_b32_e32 v13, s11, v7
	v_cmpx_ne_u64_e32 0, v[12:13]
	s_xor_b32 s3, exec_lo, s2
	s_cbranch_execz .LBB21_11
; %bb.10:
	s_ashr_i32 s8, s11, 31
	s_mov_b32 s25, 0
	s_mov_b32 s9, s8
	v_dual_mov_b32 v17, v12 :: v_dual_ashrrev_i32 v10, 31, v7
	s_add_nc_u64 s[12:13], s[10:11], s[8:9]
	v_mov_b32_e32 v19, v12
	s_xor_b64 s[12:13], s[12:13], s[8:9]
	s_delay_alu instid0(VALU_DEP_2)
	v_mov_b32_e32 v11, v10
	s_cvt_f32_u32 s2, s12
	s_cvt_f32_u32 s9, s13
	s_sub_nc_u64 s[20:21], 0, s[12:13]
	v_mov_b32_e32 v25, v12
	v_add_nc_u64_e32 v[14:15], v[6:7], v[10:11]
	s_fmamk_f32 s2, s9, 0x4f800000, s2
	v_mov_b32_e32 v13, v12
	s_delay_alu instid0(SALU_CYCLE_2) | instskip(NEXT) | instid1(VALU_DEP_2)
	v_s_rcp_f32 s2, s2
	v_xor_b32_e32 v16, v14, v10
	s_delay_alu instid0(VALU_DEP_3) | instskip(SKIP_1) | instid1(TRANS32_DEP_1)
	v_xor_b32_e32 v18, v15, v10
	v_xor_b32_e32 v10, s8, v10
	s_mul_f32 s2, s2, 0x5f7ffffc
	s_delay_alu instid0(SALU_CYCLE_3) | instskip(NEXT) | instid1(SALU_CYCLE_3)
	s_mul_f32 s9, s2, 0x2f800000
	s_trunc_f32 s9, s9
	s_delay_alu instid0(SALU_CYCLE_3) | instskip(SKIP_1) | instid1(SALU_CYCLE_2)
	s_fmamk_f32 s2, s9, 0xcf800000, s2
	s_cvt_u32_f32 s15, s9
	s_cvt_u32_f32 s14, s2
	s_delay_alu instid0(SALU_CYCLE_3) | instskip(NEXT) | instid1(SALU_CYCLE_1)
	s_mul_u64 s[22:23], s[20:21], s[14:15]
	s_mul_hi_u32 s27, s14, s23
	s_mul_i32 s26, s14, s23
	s_mul_hi_u32 s24, s14, s22
	s_mul_i32 s9, s15, s22
	s_add_nc_u64 s[26:27], s[24:25], s[26:27]
	s_mul_hi_u32 s2, s15, s22
	s_mul_hi_u32 s28, s15, s23
	s_add_co_u32 s9, s26, s9
	s_add_co_ci_u32 s24, s27, s2
	s_mul_i32 s22, s15, s23
	s_add_co_ci_u32 s23, s28, 0
	s_delay_alu instid0(SALU_CYCLE_1) | instskip(NEXT) | instid1(SALU_CYCLE_1)
	s_add_nc_u64 s[22:23], s[24:25], s[22:23]
	s_add_co_u32 s14, s14, s22
	s_cselect_b32 s2, -1, 0
	s_delay_alu instid0(SALU_CYCLE_1) | instskip(SKIP_1) | instid1(SALU_CYCLE_1)
	s_cmp_lg_u32 s2, 0
	s_add_co_ci_u32 s15, s15, s23
	s_mul_u64 s[20:21], s[20:21], s[14:15]
	s_delay_alu instid0(SALU_CYCLE_1)
	s_mul_hi_u32 s23, s14, s21
	s_mul_i32 s22, s14, s21
	s_mul_hi_u32 s24, s14, s20
	s_mul_i32 s9, s15, s20
	s_add_nc_u64 s[22:23], s[24:25], s[22:23]
	s_mul_hi_u32 s2, s15, s20
	s_mul_hi_u32 s26, s15, s21
	s_add_co_u32 s9, s22, s9
	s_add_co_ci_u32 s24, s23, s2
	s_mul_i32 s20, s15, s21
	s_add_co_ci_u32 s21, s26, 0
	s_delay_alu instid0(SALU_CYCLE_1) | instskip(NEXT) | instid1(SALU_CYCLE_1)
	s_add_nc_u64 s[20:21], s[24:25], s[20:21]
	s_add_co_u32 s2, s14, s20
	s_cselect_b32 s9, -1, 0
	v_mul_hi_u32 v24, v16, s2
	s_cmp_lg_u32 s9, 0
	s_add_co_ci_u32 s24, s15, s21
	s_mov_b64 s[14:15], 0xffffffff
	v_mul_u64_e32 v[20:21], s[24:25], v[16:17]
	s_and_b64 s[14:15], s[2:3], s[14:15]
	v_mul_u64_e32 v[22:23], s[24:25], v[18:19]
	v_mul_u64_e32 v[14:15], s[14:15], v[18:19]
	s_delay_alu instid0(VALU_DEP_3) | instskip(NEXT) | instid1(VALU_DEP_1)
	v_add_nc_u64_e32 v[20:21], v[24:25], v[20:21]
	v_add_co_u32 v9, vcc_lo, v20, v14
	s_delay_alu instid0(VALU_DEP_2) | instskip(SKIP_1) | instid1(VALU_DEP_1)
	v_add_co_ci_u32_e32 v12, vcc_lo, v21, v15, vcc_lo
	v_add_co_ci_u32_e32 v23, vcc_lo, 0, v23, vcc_lo
	v_add_nc_u64_e32 v[12:13], v[12:13], v[22:23]
	s_delay_alu instid0(VALU_DEP_1) | instskip(NEXT) | instid1(VALU_DEP_1)
	v_mul_u64_e32 v[14:15], s[12:13], v[12:13]
	v_sub_co_u32 v11, vcc_lo, v16, v14
	v_add_nc_u64_e32 v[16:17], 1, v[12:13]
	s_delay_alu instid0(VALU_DEP_3) | instskip(SKIP_1) | instid1(VALU_DEP_4)
	v_sub_nc_u32_e32 v9, v18, v15
	v_sub_co_ci_u32_e64 v18, null, v18, v15, vcc_lo
	v_sub_co_u32 v14, s2, v11, s12
	s_delay_alu instid0(VALU_DEP_3) | instskip(NEXT) | instid1(VALU_DEP_2)
	v_subrev_co_ci_u32_e64 v9, null, s13, v9, vcc_lo
	v_cmp_le_u32_e32 vcc_lo, s12, v14
	s_delay_alu instid0(VALU_DEP_2) | instskip(SKIP_1) | instid1(VALU_DEP_2)
	v_subrev_co_ci_u32_e64 v9, null, 0, v9, s2
	v_cndmask_b32_e64 v14, 0, -1, vcc_lo
	v_cmp_le_u32_e32 vcc_lo, s13, v9
	v_cndmask_b32_e64 v15, 0, -1, vcc_lo
	v_cmp_le_u32_e32 vcc_lo, s12, v11
	;; [unrolled: 2-line block ×3, first 2 shown]
	v_cndmask_b32_e64 v19, 0, -1, vcc_lo
	v_cmp_eq_u32_e32 vcc_lo, s13, v9
	v_cndmask_b32_e32 v9, v15, v14, vcc_lo
	v_cmp_eq_u32_e32 vcc_lo, s13, v18
	v_add_nc_u64_e32 v[14:15], 2, v[12:13]
	v_cndmask_b32_e32 v11, v19, v11, vcc_lo
	s_delay_alu instid0(VALU_DEP_4) | instskip(NEXT) | instid1(VALU_DEP_2)
	v_cmp_ne_u32_e32 vcc_lo, 0, v9
	v_cmp_ne_u32_e64 s2, 0, v11
	s_delay_alu instid0(VALU_DEP_4) | instskip(NEXT) | instid1(VALU_DEP_1)
	v_dual_cndmask_b32 v9, v17, v15, vcc_lo :: v_dual_cndmask_b32 v11, v16, v14, vcc_lo
	v_dual_cndmask_b32 v12, v12, v11, s2 :: v_dual_mov_b32 v11, v10
	s_delay_alu instid0(VALU_DEP_1) | instskip(NEXT) | instid1(VALU_DEP_1)
	v_dual_cndmask_b32 v9, v13, v9, s2 :: v_dual_bitop2_b32 v12, v12, v10 bitop3:0x14
	v_xor_b32_e32 v13, v9, v10
	s_delay_alu instid0(VALU_DEP_1)
	v_sub_nc_u64_e32 v[10:11], v[12:13], v[10:11]
.LBB21_11:
	s_and_not1_saveexec_b32 s2, s3
	s_cbranch_execz .LBB21_13
; %bb.12:
	v_cvt_f32_u32_e32 v9, s10
	s_sub_co_i32 s3, 0, s10
	s_delay_alu instid0(VALU_DEP_1) | instskip(SKIP_1) | instid1(TRANS32_DEP_1)
	v_rcp_iflag_f32_e32 v9, v9
	v_nop
	v_mul_f32_e32 v9, 0x4f7ffffe, v9
	s_delay_alu instid0(VALU_DEP_1) | instskip(NEXT) | instid1(VALU_DEP_1)
	v_cvt_u32_f32_e32 v9, v9
	v_mul_lo_u32 v10, s3, v9
	s_delay_alu instid0(VALU_DEP_1) | instskip(NEXT) | instid1(VALU_DEP_1)
	v_mul_hi_u32 v10, v9, v10
	v_add_nc_u32_e32 v9, v9, v10
	s_delay_alu instid0(VALU_DEP_1) | instskip(NEXT) | instid1(VALU_DEP_1)
	v_mul_hi_u32 v9, v6, v9
	v_mul_lo_u32 v10, v9, s10
	s_delay_alu instid0(VALU_DEP_1) | instskip(NEXT) | instid1(VALU_DEP_1)
	v_dual_add_nc_u32 v11, 1, v9 :: v_dual_sub_nc_u32 v10, v6, v10
	v_subrev_nc_u32_e32 v12, s10, v10
	v_cmp_le_u32_e32 vcc_lo, s10, v10
	s_delay_alu instid0(VALU_DEP_2) | instskip(NEXT) | instid1(VALU_DEP_1)
	v_dual_cndmask_b32 v10, v10, v12 :: v_dual_cndmask_b32 v9, v9, v11
	v_cmp_le_u32_e32 vcc_lo, s10, v10
	s_delay_alu instid0(VALU_DEP_2) | instskip(NEXT) | instid1(VALU_DEP_1)
	v_add_nc_u32_e32 v11, 1, v9
	v_dual_cndmask_b32 v10, v9, v11 :: v_dual_mov_b32 v11, 0
.LBB21_13:
	s_or_b32 exec_lo, exec_lo, s2
	s_load_b512 s[36:51], s[0:1], 0x40
                                        ; implicit-def: $vgpr12_vgpr13
	s_mov_b32 s2, exec_lo
	v_mov_b32_e32 v14, 0
	s_wait_kmcnt 0x0
	s_mul_u64 s[8:9], s[42:43], s[40:41]
	s_delay_alu instid0(SALU_CYCLE_1) | instskip(NEXT) | instid1(SALU_CYCLE_1)
	s_mul_u64 s[12:13], s[8:9], s[44:45]
	v_or_b32_e32 v15, s13, v5
	s_delay_alu instid0(VALU_DEP_1)
	v_cmpx_ne_u64_e32 0, v[14:15]
	s_xor_b32 s3, exec_lo, s2
	s_cbranch_execz .LBB21_15
; %bb.14:
	s_ashr_i32 s14, s13, 31
	s_mov_b32 s29, 0
	s_mov_b32 s15, s14
	v_dual_mov_b32 v9, v8 :: v_dual_mov_b32 v17, v14
	s_add_nc_u64 s[20:21], s[12:13], s[14:15]
	v_mov_b32_e32 v15, v14
	s_xor_b64 s[20:21], s[20:21], s[14:15]
	s_delay_alu instid0(VALU_DEP_2) | instskip(SKIP_4) | instid1(SALU_CYCLE_1)
	v_add_nc_u64_e32 v[12:13], v[4:5], v[8:9]
	s_cvt_f32_u32 s2, s20
	s_cvt_f32_u32 s15, s21
	s_sub_nc_u64 s[24:25], 0, s[20:21]
	v_dual_mov_b32 v19, v14 :: v_dual_mov_b32 v25, v14
	s_fmamk_f32 s2, s15, 0x4f800000, s2
	s_delay_alu instid0(VALU_DEP_2) | instskip(SKIP_3) | instid1(TRANS32_DEP_1)
	v_xor_b32_e32 v16, v12, v8
	v_xor_b32_e32 v18, v13, v8
	;; [unrolled: 1-line block ×3, first 2 shown]
	v_s_rcp_f32 s2, s2
	s_mul_f32 s2, s2, 0x5f7ffffc
	s_delay_alu instid0(SALU_CYCLE_3) | instskip(NEXT) | instid1(SALU_CYCLE_3)
	s_mul_f32 s15, s2, 0x2f800000
	s_trunc_f32 s15, s15
	s_delay_alu instid0(SALU_CYCLE_3) | instskip(SKIP_1) | instid1(SALU_CYCLE_2)
	s_fmamk_f32 s2, s15, 0xcf800000, s2
	s_cvt_u32_f32 s23, s15
	s_cvt_u32_f32 s22, s2
	s_delay_alu instid0(SALU_CYCLE_3) | instskip(NEXT) | instid1(SALU_CYCLE_1)
	s_mul_u64 s[26:27], s[24:25], s[22:23]
	s_mul_hi_u32 s31, s22, s27
	s_mul_i32 s30, s22, s27
	s_mul_hi_u32 s28, s22, s26
	s_mul_i32 s15, s23, s26
	s_add_nc_u64 s[30:31], s[28:29], s[30:31]
	s_mul_hi_u32 s2, s23, s26
	s_mul_hi_u32 s33, s23, s27
	s_add_co_u32 s15, s30, s15
	s_add_co_ci_u32 s28, s31, s2
	s_mul_i32 s26, s23, s27
	s_add_co_ci_u32 s27, s33, 0
	s_delay_alu instid0(SALU_CYCLE_1) | instskip(NEXT) | instid1(SALU_CYCLE_1)
	s_add_nc_u64 s[26:27], s[28:29], s[26:27]
	s_add_co_u32 s22, s22, s26
	s_cselect_b32 s2, -1, 0
	s_delay_alu instid0(SALU_CYCLE_1) | instskip(SKIP_1) | instid1(SALU_CYCLE_1)
	s_cmp_lg_u32 s2, 0
	s_add_co_ci_u32 s23, s23, s27
	s_mul_u64 s[24:25], s[24:25], s[22:23]
	s_delay_alu instid0(SALU_CYCLE_1)
	s_mul_hi_u32 s27, s22, s25
	s_mul_i32 s26, s22, s25
	s_mul_hi_u32 s28, s22, s24
	s_mul_i32 s15, s23, s24
	s_add_nc_u64 s[26:27], s[28:29], s[26:27]
	s_mul_hi_u32 s2, s23, s24
	s_mul_hi_u32 s30, s23, s25
	s_add_co_u32 s15, s26, s15
	s_add_co_ci_u32 s28, s27, s2
	s_mul_i32 s24, s23, s25
	s_add_co_ci_u32 s25, s30, 0
	s_delay_alu instid0(SALU_CYCLE_1) | instskip(NEXT) | instid1(SALU_CYCLE_1)
	s_add_nc_u64 s[24:25], s[28:29], s[24:25]
	s_add_co_u32 s2, s22, s24
	s_cselect_b32 s15, -1, 0
	v_nop
	v_mul_hi_u32 v24, v16, s2
	s_cmp_lg_u32 s15, 0
	s_add_co_ci_u32 s28, s23, s25
	s_mov_b64 s[22:23], 0xffffffff
	v_mul_u64_e32 v[20:21], s[28:29], v[16:17]
	s_and_b64 s[22:23], s[2:3], s[22:23]
	v_mul_u64_e32 v[22:23], s[28:29], v[18:19]
	v_mul_u64_e32 v[12:13], s[22:23], v[18:19]
	s_delay_alu instid0(VALU_DEP_3) | instskip(NEXT) | instid1(VALU_DEP_1)
	v_add_nc_u64_e32 v[20:21], v[24:25], v[20:21]
	v_add_co_u32 v9, vcc_lo, v20, v12
	s_delay_alu instid0(VALU_DEP_2) | instskip(SKIP_1) | instid1(VALU_DEP_1)
	v_add_co_ci_u32_e32 v14, vcc_lo, v21, v13, vcc_lo
	v_add_co_ci_u32_e32 v23, vcc_lo, 0, v23, vcc_lo
	v_add_nc_u64_e32 v[12:13], v[14:15], v[22:23]
	s_delay_alu instid0(VALU_DEP_1) | instskip(NEXT) | instid1(VALU_DEP_1)
	v_mul_u64_e32 v[14:15], s[20:21], v[12:13]
	v_sub_nc_u32_e32 v9, v18, v15
	s_delay_alu instid0(VALU_DEP_2) | instskip(NEXT) | instid1(VALU_DEP_1)
	v_sub_co_u32 v14, vcc_lo, v16, v14
	v_sub_co_ci_u32_e64 v18, null, v18, v15, vcc_lo
	s_delay_alu instid0(VALU_DEP_3) | instskip(NEXT) | instid1(VALU_DEP_3)
	v_subrev_co_ci_u32_e64 v9, null, s21, v9, vcc_lo
	v_sub_co_u32 v16, s2, v14, s20
	s_delay_alu instid0(VALU_DEP_1) | instskip(NEXT) | instid1(VALU_DEP_2)
	v_subrev_co_ci_u32_e64 v9, null, 0, v9, s2
	v_cmp_le_u32_e32 vcc_lo, s20, v16
	v_cndmask_b32_e64 v15, 0, -1, vcc_lo
	s_delay_alu instid0(VALU_DEP_3)
	v_cmp_le_u32_e32 vcc_lo, s21, v9
	v_cndmask_b32_e64 v16, 0, -1, vcc_lo
	v_cmp_le_u32_e32 vcc_lo, s20, v14
	v_cndmask_b32_e64 v19, 0, -1, vcc_lo
	;; [unrolled: 2-line block ×3, first 2 shown]
	v_cmp_eq_u32_e32 vcc_lo, s21, v9
	v_cndmask_b32_e32 v9, v16, v15, vcc_lo
	v_cmp_eq_u32_e32 vcc_lo, s21, v18
	v_add_nc_u64_e32 v[14:15], 2, v[12:13]
	v_add_nc_u64_e32 v[16:17], 1, v[12:13]
	v_cndmask_b32_e32 v18, v20, v19, vcc_lo
	v_cmp_ne_u32_e32 vcc_lo, 0, v9
	s_delay_alu instid0(VALU_DEP_2) | instskip(NEXT) | instid1(VALU_DEP_4)
	v_cmp_ne_u32_e64 s2, 0, v18
	v_dual_cndmask_b32 v14, v16, v14 :: v_dual_cndmask_b32 v9, v17, v15
	s_delay_alu instid0(VALU_DEP_1) | instskip(SKIP_1) | instid1(VALU_DEP_2)
	v_dual_cndmask_b32 v12, v12, v14, s2 :: v_dual_cndmask_b32 v13, v13, v9, s2
	v_mov_b32_e32 v9, v8
	v_xor_b32_e32 v12, v12, v8
	s_delay_alu instid0(VALU_DEP_3) | instskip(NEXT) | instid1(VALU_DEP_1)
	v_xor_b32_e32 v13, v13, v8
	v_sub_nc_u64_e32 v[12:13], v[12:13], v[8:9]
.LBB21_15:
	s_and_not1_saveexec_b32 s2, s3
	s_cbranch_execz .LBB21_17
; %bb.16:
	v_cvt_f32_u32_e32 v8, s12
	s_sub_co_i32 s3, 0, s12
	s_delay_alu instid0(VALU_DEP_1) | instskip(SKIP_1) | instid1(TRANS32_DEP_1)
	v_rcp_iflag_f32_e32 v8, v8
	v_nop
	v_mul_f32_e32 v8, 0x4f7ffffe, v8
	s_delay_alu instid0(VALU_DEP_1) | instskip(NEXT) | instid1(VALU_DEP_1)
	v_cvt_u32_f32_e32 v8, v8
	v_mul_lo_u32 v9, s3, v8
	s_delay_alu instid0(VALU_DEP_1) | instskip(NEXT) | instid1(VALU_DEP_1)
	v_mul_hi_u32 v9, v8, v9
	v_add_nc_u32_e32 v8, v8, v9
	s_delay_alu instid0(VALU_DEP_1) | instskip(NEXT) | instid1(VALU_DEP_1)
	v_mul_hi_u32 v8, v4, v8
	v_mul_lo_u32 v9, v8, s12
	s_delay_alu instid0(VALU_DEP_1) | instskip(NEXT) | instid1(VALU_DEP_1)
	v_sub_nc_u32_e32 v9, v4, v9
	v_subrev_nc_u32_e32 v13, s12, v9
	v_cmp_le_u32_e32 vcc_lo, s12, v9
	s_delay_alu instid0(VALU_DEP_2) | instskip(NEXT) | instid1(VALU_DEP_1)
	v_dual_cndmask_b32 v9, v9, v13 :: v_dual_add_nc_u32 v12, 1, v8
	v_dual_cndmask_b32 v8, v8, v12 :: v_dual_mov_b32 v13, 0
	s_delay_alu instid0(VALU_DEP_2) | instskip(NEXT) | instid1(VALU_DEP_2)
	v_cmp_le_u32_e32 vcc_lo, s12, v9
	v_add_nc_u32_e32 v12, 1, v8
	s_delay_alu instid0(VALU_DEP_1)
	v_cndmask_b32_e32 v12, v8, v12, vcc_lo
.LBB21_17:
	s_or_b32 exec_lo, exec_lo, s2
	s_delay_alu instid0(VALU_DEP_1) | instskip(SKIP_2) | instid1(VALU_DEP_2)
	v_mul_u64_e32 v[8:9], s[12:13], v[12:13]
	s_mov_b32 s2, exec_lo
	v_mov_b32_e32 v14, 0
	v_sub_nc_u64_e32 v[8:9], v[4:5], v[8:9]
                                        ; implicit-def: $vgpr4_vgpr5
	s_delay_alu instid0(VALU_DEP_1) | instskip(NEXT) | instid1(VALU_DEP_1)
	v_or_b32_e32 v15, s9, v9
	v_cmpx_ne_u64_e32 0, v[14:15]
	s_xor_b32 s3, exec_lo, s2
	s_cbranch_execz .LBB21_19
; %bb.18:
	s_ashr_i32 s12, s9, 31
	s_mov_b32 s27, 0
	s_mov_b32 s13, s12
	v_dual_mov_b32 v19, v14 :: v_dual_ashrrev_i32 v4, 31, v9
	s_add_nc_u64 s[14:15], s[8:9], s[12:13]
	v_mov_b32_e32 v21, v14
	s_xor_b64 s[14:15], s[14:15], s[12:13]
	s_delay_alu instid0(VALU_DEP_2)
	v_mov_b32_e32 v5, v4
	s_cvt_f32_u32 s2, s14
	s_cvt_f32_u32 s13, s15
	s_sub_nc_u64 s[22:23], 0, s[14:15]
	v_mov_b32_e32 v27, v14
	v_add_nc_u64_e32 v[16:17], v[8:9], v[4:5]
	s_fmamk_f32 s2, s13, 0x4f800000, s2
	v_mov_b32_e32 v15, v14
	s_delay_alu instid0(SALU_CYCLE_2) | instskip(NEXT) | instid1(VALU_DEP_2)
	v_s_rcp_f32 s2, s2
	v_xor_b32_e32 v18, v16, v4
	s_delay_alu instid0(VALU_DEP_3) | instskip(SKIP_1) | instid1(TRANS32_DEP_1)
	v_xor_b32_e32 v20, v17, v4
	v_xor_b32_e32 v4, s12, v4
	s_mul_f32 s2, s2, 0x5f7ffffc
	s_delay_alu instid0(SALU_CYCLE_3) | instskip(NEXT) | instid1(SALU_CYCLE_3)
	s_mul_f32 s13, s2, 0x2f800000
	s_trunc_f32 s13, s13
	s_delay_alu instid0(SALU_CYCLE_3) | instskip(SKIP_1) | instid1(SALU_CYCLE_2)
	s_fmamk_f32 s2, s13, 0xcf800000, s2
	s_cvt_u32_f32 s21, s13
	s_cvt_u32_f32 s20, s2
	s_delay_alu instid0(SALU_CYCLE_3) | instskip(NEXT) | instid1(SALU_CYCLE_1)
	s_mul_u64 s[24:25], s[22:23], s[20:21]
	s_mul_hi_u32 s29, s20, s25
	s_mul_i32 s28, s20, s25
	s_mul_hi_u32 s26, s20, s24
	s_mul_i32 s13, s21, s24
	s_add_nc_u64 s[28:29], s[26:27], s[28:29]
	s_mul_hi_u32 s2, s21, s24
	s_mul_hi_u32 s30, s21, s25
	s_add_co_u32 s13, s28, s13
	s_add_co_ci_u32 s26, s29, s2
	s_mul_i32 s24, s21, s25
	s_add_co_ci_u32 s25, s30, 0
	s_delay_alu instid0(SALU_CYCLE_1) | instskip(NEXT) | instid1(SALU_CYCLE_1)
	s_add_nc_u64 s[24:25], s[26:27], s[24:25]
	s_add_co_u32 s20, s20, s24
	s_cselect_b32 s2, -1, 0
	s_delay_alu instid0(SALU_CYCLE_1) | instskip(SKIP_1) | instid1(SALU_CYCLE_1)
	s_cmp_lg_u32 s2, 0
	s_add_co_ci_u32 s21, s21, s25
	s_mul_u64 s[22:23], s[22:23], s[20:21]
	s_delay_alu instid0(SALU_CYCLE_1)
	s_mul_hi_u32 s25, s20, s23
	s_mul_i32 s24, s20, s23
	s_mul_hi_u32 s26, s20, s22
	s_mul_i32 s13, s21, s22
	s_add_nc_u64 s[24:25], s[26:27], s[24:25]
	s_mul_hi_u32 s2, s21, s22
	s_mul_hi_u32 s28, s21, s23
	s_add_co_u32 s13, s24, s13
	s_add_co_ci_u32 s26, s25, s2
	s_mul_i32 s22, s21, s23
	s_add_co_ci_u32 s23, s28, 0
	s_delay_alu instid0(SALU_CYCLE_1) | instskip(NEXT) | instid1(SALU_CYCLE_1)
	s_add_nc_u64 s[22:23], s[26:27], s[22:23]
	s_add_co_u32 s2, s20, s22
	s_cselect_b32 s13, -1, 0
	v_mul_hi_u32 v26, v18, s2
	s_cmp_lg_u32 s13, 0
	s_add_co_ci_u32 s26, s21, s23
	s_mov_b64 s[20:21], 0xffffffff
	v_mul_u64_e32 v[22:23], s[26:27], v[18:19]
	s_and_b64 s[20:21], s[2:3], s[20:21]
	v_mul_u64_e32 v[24:25], s[26:27], v[20:21]
	v_mul_u64_e32 v[16:17], s[20:21], v[20:21]
	s_delay_alu instid0(VALU_DEP_3) | instskip(NEXT) | instid1(VALU_DEP_1)
	v_add_nc_u64_e32 v[22:23], v[26:27], v[22:23]
	v_add_co_u32 v5, vcc_lo, v22, v16
	s_delay_alu instid0(VALU_DEP_2) | instskip(SKIP_1) | instid1(VALU_DEP_1)
	v_add_co_ci_u32_e32 v14, vcc_lo, v23, v17, vcc_lo
	v_add_co_ci_u32_e32 v25, vcc_lo, 0, v25, vcc_lo
	v_add_nc_u64_e32 v[14:15], v[14:15], v[24:25]
	s_delay_alu instid0(VALU_DEP_1) | instskip(NEXT) | instid1(VALU_DEP_1)
	v_mul_u64_e32 v[16:17], s[14:15], v[14:15]
	v_sub_nc_u32_e32 v5, v20, v17
	s_delay_alu instid0(VALU_DEP_2) | instskip(NEXT) | instid1(VALU_DEP_1)
	v_sub_co_u32 v16, vcc_lo, v18, v16
	v_sub_co_ci_u32_e64 v20, null, v20, v17, vcc_lo
	s_delay_alu instid0(VALU_DEP_3) | instskip(NEXT) | instid1(VALU_DEP_3)
	v_subrev_co_ci_u32_e64 v5, null, s15, v5, vcc_lo
	v_sub_co_u32 v18, s2, v16, s14
	s_delay_alu instid0(VALU_DEP_1) | instskip(NEXT) | instid1(VALU_DEP_2)
	v_subrev_co_ci_u32_e64 v5, null, 0, v5, s2
	v_cmp_le_u32_e32 vcc_lo, s14, v18
	v_cndmask_b32_e64 v17, 0, -1, vcc_lo
	s_delay_alu instid0(VALU_DEP_3)
	v_cmp_le_u32_e32 vcc_lo, s15, v5
	v_cndmask_b32_e64 v18, 0, -1, vcc_lo
	v_cmp_le_u32_e32 vcc_lo, s14, v16
	v_cndmask_b32_e64 v21, 0, -1, vcc_lo
	;; [unrolled: 2-line block ×3, first 2 shown]
	v_cmp_eq_u32_e32 vcc_lo, s15, v5
	v_cndmask_b32_e32 v5, v18, v17, vcc_lo
	v_cmp_eq_u32_e32 vcc_lo, s15, v20
	v_add_nc_u64_e32 v[16:17], 2, v[14:15]
	v_add_nc_u64_e32 v[18:19], 1, v[14:15]
	v_cndmask_b32_e32 v20, v22, v21, vcc_lo
	v_cmp_ne_u32_e32 vcc_lo, 0, v5
	s_delay_alu instid0(VALU_DEP_2) | instskip(NEXT) | instid1(VALU_DEP_4)
	v_cmp_ne_u32_e64 s2, 0, v20
	v_dual_cndmask_b32 v16, v18, v16 :: v_dual_cndmask_b32 v5, v19, v17
	s_delay_alu instid0(VALU_DEP_1) | instskip(NEXT) | instid1(VALU_DEP_1)
	v_dual_cndmask_b32 v14, v14, v16, s2 :: v_dual_cndmask_b32 v15, v15, v5, s2
	v_dual_mov_b32 v5, v4 :: v_dual_bitop2_b32 v14, v14, v4 bitop3:0x14
	s_delay_alu instid0(VALU_DEP_2) | instskip(NEXT) | instid1(VALU_DEP_1)
	v_xor_b32_e32 v15, v15, v4
	v_sub_nc_u64_e32 v[4:5], v[14:15], v[4:5]
.LBB21_19:
	s_and_not1_saveexec_b32 s2, s3
	s_cbranch_execz .LBB21_21
; %bb.20:
	v_cvt_f32_u32_e32 v4, s8
	s_sub_co_i32 s3, 0, s8
	s_delay_alu instid0(VALU_DEP_1) | instskip(SKIP_1) | instid1(TRANS32_DEP_1)
	v_rcp_iflag_f32_e32 v4, v4
	v_nop
	v_mul_f32_e32 v4, 0x4f7ffffe, v4
	s_delay_alu instid0(VALU_DEP_1) | instskip(NEXT) | instid1(VALU_DEP_1)
	v_cvt_u32_f32_e32 v4, v4
	v_mul_lo_u32 v5, s3, v4
	s_delay_alu instid0(VALU_DEP_1) | instskip(NEXT) | instid1(VALU_DEP_1)
	v_mul_hi_u32 v5, v4, v5
	v_add_nc_u32_e32 v4, v4, v5
	s_delay_alu instid0(VALU_DEP_1) | instskip(NEXT) | instid1(VALU_DEP_1)
	v_mul_hi_u32 v4, v8, v4
	v_mul_lo_u32 v5, v4, s8
	s_delay_alu instid0(VALU_DEP_1) | instskip(NEXT) | instid1(VALU_DEP_1)
	v_dual_add_nc_u32 v14, 1, v4 :: v_dual_sub_nc_u32 v5, v8, v5
	v_subrev_nc_u32_e32 v15, s8, v5
	v_cmp_le_u32_e32 vcc_lo, s8, v5
	s_delay_alu instid0(VALU_DEP_2) | instskip(NEXT) | instid1(VALU_DEP_1)
	v_dual_cndmask_b32 v5, v5, v15 :: v_dual_cndmask_b32 v4, v4, v14
	v_cmp_le_u32_e32 vcc_lo, s8, v5
	s_delay_alu instid0(VALU_DEP_2) | instskip(NEXT) | instid1(VALU_DEP_1)
	v_dual_mov_b32 v5, 0 :: v_dual_add_nc_u32 v14, 1, v4
	v_cndmask_b32_e32 v4, v4, v14, vcc_lo
.LBB21_21:
	s_or_b32 exec_lo, exec_lo, s2
	s_delay_alu instid0(VALU_DEP_1) | instskip(SKIP_1) | instid1(VALU_DEP_1)
	v_mul_u64_e32 v[14:15], s[8:9], v[4:5]
                                        ; implicit-def: $vgpr16_vgpr17
	s_mov_b32 s2, exec_lo
	v_sub_nc_u64_e32 v[8:9], v[8:9], v[14:15]
	s_delay_alu instid0(VALU_DEP_1) | instskip(NEXT) | instid1(VALU_DEP_1)
	v_dual_mov_b32 v14, 0 :: v_dual_bitop2_b32 v15, s41, v9 bitop3:0x54
	v_cmpx_ne_u64_e32 0, v[14:15]
	s_xor_b32 s3, exec_lo, s2
	s_cbranch_execz .LBB21_23
; %bb.22:
	s_ashr_i32 s8, s41, 31
	s_mov_b32 s25, 0
	s_mov_b32 s9, s8
	v_dual_mov_b32 v21, v14 :: v_dual_ashrrev_i32 v16, 31, v9
	s_add_nc_u64 s[12:13], s[40:41], s[8:9]
	v_dual_mov_b32 v29, v14 :: v_dual_mov_b32 v15, v14
	s_xor_b64 s[12:13], s[12:13], s[8:9]
	s_delay_alu instid0(VALU_DEP_2) | instskip(SKIP_3) | instid1(VALU_DEP_1)
	v_mov_b32_e32 v17, v16
	s_cvt_f32_u32 s2, s12
	s_cvt_f32_u32 s9, s13
	s_sub_nc_u64 s[20:21], 0, s[12:13]
	v_add_nc_u64_e32 v[18:19], v[8:9], v[16:17]
	s_delay_alu instid0(SALU_CYCLE_1) | instskip(SKIP_1) | instid1(SALU_CYCLE_2)
	s_fmamk_f32 s2, s9, 0x4f800000, s2
	v_mov_b32_e32 v23, v14
	v_s_rcp_f32 s2, s2
	s_delay_alu instid0(VALU_DEP_2) | instskip(NEXT) | instid1(VALU_DEP_3)
	v_xor_b32_e32 v20, v18, v16
	v_xor_b32_e32 v22, v19, v16
	;; [unrolled: 1-line block ×3, first 2 shown]
	s_delay_alu instid0(TRANS32_DEP_1) | instskip(NEXT) | instid1(SALU_CYCLE_3)
	s_mul_f32 s2, s2, 0x5f7ffffc
	s_mul_f32 s9, s2, 0x2f800000
	s_delay_alu instid0(SALU_CYCLE_3) | instskip(NEXT) | instid1(SALU_CYCLE_3)
	s_trunc_f32 s9, s9
	s_fmamk_f32 s2, s9, 0xcf800000, s2
	s_cvt_u32_f32 s15, s9
	s_delay_alu instid0(SALU_CYCLE_2) | instskip(NEXT) | instid1(SALU_CYCLE_3)
	s_cvt_u32_f32 s14, s2
	s_mul_u64 s[22:23], s[20:21], s[14:15]
	s_delay_alu instid0(SALU_CYCLE_1)
	s_mul_hi_u32 s27, s14, s23
	s_mul_i32 s26, s14, s23
	s_mul_hi_u32 s24, s14, s22
	s_mul_i32 s9, s15, s22
	s_add_nc_u64 s[26:27], s[24:25], s[26:27]
	s_mul_hi_u32 s2, s15, s22
	s_mul_hi_u32 s28, s15, s23
	s_add_co_u32 s9, s26, s9
	s_add_co_ci_u32 s24, s27, s2
	s_mul_i32 s22, s15, s23
	s_add_co_ci_u32 s23, s28, 0
	s_delay_alu instid0(SALU_CYCLE_1) | instskip(NEXT) | instid1(SALU_CYCLE_1)
	s_add_nc_u64 s[22:23], s[24:25], s[22:23]
	s_add_co_u32 s14, s14, s22
	s_cselect_b32 s2, -1, 0
	s_delay_alu instid0(SALU_CYCLE_1) | instskip(SKIP_1) | instid1(SALU_CYCLE_1)
	s_cmp_lg_u32 s2, 0
	s_add_co_ci_u32 s15, s15, s23
	s_mul_u64 s[20:21], s[20:21], s[14:15]
	s_delay_alu instid0(SALU_CYCLE_1)
	s_mul_hi_u32 s23, s14, s21
	s_mul_i32 s22, s14, s21
	s_mul_hi_u32 s24, s14, s20
	s_mul_i32 s9, s15, s20
	s_add_nc_u64 s[22:23], s[24:25], s[22:23]
	s_mul_hi_u32 s2, s15, s20
	s_mul_hi_u32 s26, s15, s21
	s_add_co_u32 s9, s22, s9
	s_add_co_ci_u32 s24, s23, s2
	s_mul_i32 s20, s15, s21
	s_add_co_ci_u32 s21, s26, 0
	s_delay_alu instid0(SALU_CYCLE_1) | instskip(NEXT) | instid1(SALU_CYCLE_1)
	s_add_nc_u64 s[20:21], s[24:25], s[20:21]
	s_add_co_u32 s2, s14, s20
	s_cselect_b32 s9, -1, 0
	v_mul_hi_u32 v28, v20, s2
	s_cmp_lg_u32 s9, 0
	s_add_co_ci_u32 s24, s15, s21
	s_mov_b64 s[14:15], 0xffffffff
	v_mul_u64_e32 v[24:25], s[24:25], v[20:21]
	s_and_b64 s[14:15], s[2:3], s[14:15]
	v_mul_u64_e32 v[26:27], s[24:25], v[22:23]
	v_mul_u64_e32 v[18:19], s[14:15], v[22:23]
	s_delay_alu instid0(VALU_DEP_3) | instskip(NEXT) | instid1(VALU_DEP_1)
	v_add_nc_u64_e32 v[24:25], v[28:29], v[24:25]
	v_add_co_u32 v14, vcc_lo, v24, v18
	s_delay_alu instid0(VALU_DEP_2) | instskip(SKIP_1) | instid1(VALU_DEP_1)
	v_add_co_ci_u32_e32 v14, vcc_lo, v25, v19, vcc_lo
	v_add_co_ci_u32_e32 v27, vcc_lo, 0, v27, vcc_lo
	v_add_nc_u64_e32 v[14:15], v[14:15], v[26:27]
	s_delay_alu instid0(VALU_DEP_1) | instskip(NEXT) | instid1(VALU_DEP_1)
	v_mul_u64_e32 v[18:19], s[12:13], v[14:15]
	v_sub_nc_u32_e32 v17, v22, v19
	s_delay_alu instid0(VALU_DEP_2) | instskip(NEXT) | instid1(VALU_DEP_1)
	v_sub_co_u32 v18, vcc_lo, v20, v18
	v_sub_co_ci_u32_e64 v22, null, v22, v19, vcc_lo
	s_delay_alu instid0(VALU_DEP_3) | instskip(NEXT) | instid1(VALU_DEP_3)
	v_subrev_co_ci_u32_e64 v17, null, s13, v17, vcc_lo
	v_sub_co_u32 v20, s2, v18, s12
	s_delay_alu instid0(VALU_DEP_1) | instskip(NEXT) | instid1(VALU_DEP_2)
	v_subrev_co_ci_u32_e64 v17, null, 0, v17, s2
	v_cmp_le_u32_e32 vcc_lo, s12, v20
	v_cndmask_b32_e64 v19, 0, -1, vcc_lo
	s_delay_alu instid0(VALU_DEP_3)
	v_cmp_le_u32_e32 vcc_lo, s13, v17
	v_cndmask_b32_e64 v20, 0, -1, vcc_lo
	v_cmp_le_u32_e32 vcc_lo, s12, v18
	v_cndmask_b32_e64 v23, 0, -1, vcc_lo
	;; [unrolled: 2-line block ×3, first 2 shown]
	v_cmp_eq_u32_e32 vcc_lo, s13, v17
	v_cndmask_b32_e32 v17, v20, v19, vcc_lo
	v_cmp_eq_u32_e32 vcc_lo, s13, v22
	v_add_nc_u64_e32 v[18:19], 2, v[14:15]
	v_add_nc_u64_e32 v[20:21], 1, v[14:15]
	v_cndmask_b32_e32 v22, v24, v23, vcc_lo
	v_cmp_ne_u32_e32 vcc_lo, 0, v17
	s_delay_alu instid0(VALU_DEP_2) | instskip(NEXT) | instid1(VALU_DEP_4)
	v_cmp_ne_u32_e64 s2, 0, v22
	v_dual_cndmask_b32 v18, v20, v18 :: v_dual_cndmask_b32 v17, v21, v19
	s_delay_alu instid0(VALU_DEP_1) | instskip(NEXT) | instid1(VALU_DEP_1)
	v_dual_cndmask_b32 v14, v14, v18, s2 :: v_dual_cndmask_b32 v15, v15, v17, s2
	v_dual_mov_b32 v17, v16 :: v_dual_bitop2_b32 v14, v14, v16 bitop3:0x14
	s_delay_alu instid0(VALU_DEP_2) | instskip(NEXT) | instid1(VALU_DEP_1)
	v_xor_b32_e32 v15, v15, v16
	v_sub_nc_u64_e32 v[16:17], v[14:15], v[16:17]
.LBB21_23:
	s_and_not1_saveexec_b32 s2, s3
	s_cbranch_execz .LBB21_25
; %bb.24:
	v_cvt_f32_u32_e32 v14, s40
	s_sub_co_i32 s3, 0, s40
	s_delay_alu instid0(VALU_DEP_1) | instskip(SKIP_1) | instid1(TRANS32_DEP_1)
	v_rcp_iflag_f32_e32 v14, v14
	v_nop
	v_mul_f32_e32 v14, 0x4f7ffffe, v14
	s_delay_alu instid0(VALU_DEP_1) | instskip(NEXT) | instid1(VALU_DEP_1)
	v_cvt_u32_f32_e32 v14, v14
	v_mul_lo_u32 v15, s3, v14
	s_delay_alu instid0(VALU_DEP_1) | instskip(NEXT) | instid1(VALU_DEP_1)
	v_mul_hi_u32 v15, v14, v15
	v_add_nc_u32_e32 v14, v14, v15
	s_delay_alu instid0(VALU_DEP_1) | instskip(NEXT) | instid1(VALU_DEP_1)
	v_mul_hi_u32 v14, v8, v14
	v_mul_lo_u32 v15, v14, s40
	s_delay_alu instid0(VALU_DEP_1) | instskip(NEXT) | instid1(VALU_DEP_1)
	v_dual_add_nc_u32 v16, 1, v14 :: v_dual_sub_nc_u32 v15, v8, v15
	v_subrev_nc_u32_e32 v17, s40, v15
	v_cmp_le_u32_e32 vcc_lo, s40, v15
	s_delay_alu instid0(VALU_DEP_2) | instskip(NEXT) | instid1(VALU_DEP_4)
	v_dual_cndmask_b32 v15, v15, v17, vcc_lo :: v_dual_mov_b32 v17, 0
	v_cndmask_b32_e32 v14, v14, v16, vcc_lo
	s_delay_alu instid0(VALU_DEP_2) | instskip(NEXT) | instid1(VALU_DEP_2)
	v_cmp_le_u32_e32 vcc_lo, s40, v15
	v_add_nc_u32_e32 v16, 1, v14
	s_delay_alu instid0(VALU_DEP_1)
	v_cndmask_b32_e32 v16, v14, v16, vcc_lo
.LBB21_25:
	s_or_b32 exec_lo, exec_lo, s2
	v_mul_u64_e32 v[14:15], s[10:11], v[10:11]
	s_load_b64 s[0:1], s[0:1], 0x80
	s_delay_alu instid0(VALU_DEP_1) | instskip(NEXT) | instid1(VALU_DEP_1)
	v_sub_nc_u64_e32 v[6:7], v[6:7], v[14:15]
	v_mad_nc_u64_u32 v[14:15], v6, s16, s[4:5]
	s_delay_alu instid0(VALU_DEP_1) | instskip(NEXT) | instid1(VALU_DEP_1)
	v_mad_u32 v7, v7, s16, v15
	v_mad_u32 v15, v6, s17, v7
	s_delay_alu instid0(VALU_DEP_1) | instskip(NEXT) | instid1(VALU_DEP_1)
	v_mad_nc_u64_u32 v[6:7], v10, s18, v[14:15]
	v_mad_u32 v7, v11, s18, v7
	s_delay_alu instid0(VALU_DEP_1) | instskip(NEXT) | instid1(VALU_DEP_1)
	v_mad_u32 v7, v10, s19, v7
	v_mad_nc_u64_u32 v[6:7], v2, s36, v[6:7]
	s_delay_alu instid0(VALU_DEP_1) | instskip(NEXT) | instid1(VALU_DEP_1)
	v_mad_u32 v3, v3, s36, v7
	v_mad_u32 v7, v2, s37, v3
	s_delay_alu instid0(VALU_DEP_1) | instskip(NEXT) | instid1(VALU_DEP_1)
	v_mad_nc_u64_u32 v[2:3], v0, s38, v[6:7]
	v_mad_u32 v1, v1, s38, v3
	s_delay_alu instid0(VALU_DEP_1) | instskip(SKIP_4) | instid1(VALU_DEP_1)
	v_mad_u32 v3, v0, s39, v1
	v_mul_u64_e32 v[0:1], s[40:41], v[16:17]
	global_load_u16 v6, v[2:3], off
	v_sub_nc_u64_e32 v[0:1], v[8:9], v[0:1]
	s_wait_xcnt 0x0
	v_mad_nc_u64_u32 v[2:3], v0, s46, s[6:7]
	s_delay_alu instid0(VALU_DEP_1) | instskip(NEXT) | instid1(VALU_DEP_1)
	v_mad_u32 v1, v1, s46, v3
	v_mad_u32 v3, v0, s47, v1
	s_delay_alu instid0(VALU_DEP_1) | instskip(NEXT) | instid1(VALU_DEP_1)
	v_mad_nc_u64_u32 v[0:1], v16, s48, v[2:3]
	v_mad_u32 v1, v17, s48, v1
	s_delay_alu instid0(VALU_DEP_1) | instskip(NEXT) | instid1(VALU_DEP_1)
	v_mad_u32 v1, v16, s49, v1
	v_mad_nc_u64_u32 v[0:1], v4, s50, v[0:1]
	s_delay_alu instid0(VALU_DEP_1) | instskip(NEXT) | instid1(VALU_DEP_1)
	v_mad_u32 v1, v5, s50, v1
	v_mad_u32 v1, v4, s51, v1
	s_wait_kmcnt 0x0
	s_delay_alu instid0(VALU_DEP_1) | instskip(NEXT) | instid1(VALU_DEP_1)
	v_mad_nc_u64_u32 v[0:1], v12, s0, v[0:1]
	v_mad_u32 v1, v13, s0, v1
	s_delay_alu instid0(VALU_DEP_1) | instskip(SKIP_2) | instid1(VALU_DEP_1)
	v_mad_u32 v1, v12, s1, v1
	s_wait_loadcnt 0x0
	v_cvt_f32_f16_e32 v2, v6
	v_cvt_pk_bf16_f32 v2, v2, s0
	global_store_b16 v[0:1], v2, off
.LBB21_26:
	s_endpgm
	.section	.rodata,"a",@progbits
	.p2align	6, 0x0
	.amdhsa_kernel _ZL10cpy_scalarIXadL_ZL12cpy_1_scalarI6__half14__hip_bfloat16EvPKcPcEEEvS4_S5_lllllllllllllll
		.amdhsa_group_segment_fixed_size 0
		.amdhsa_private_segment_fixed_size 0
		.amdhsa_kernarg_size 392
		.amdhsa_user_sgpr_count 2
		.amdhsa_user_sgpr_dispatch_ptr 0
		.amdhsa_user_sgpr_queue_ptr 0
		.amdhsa_user_sgpr_kernarg_segment_ptr 1
		.amdhsa_user_sgpr_dispatch_id 0
		.amdhsa_user_sgpr_kernarg_preload_length 0
		.amdhsa_user_sgpr_kernarg_preload_offset 0
		.amdhsa_user_sgpr_private_segment_size 0
		.amdhsa_wavefront_size32 1
		.amdhsa_uses_dynamic_stack 0
		.amdhsa_enable_private_segment 0
		.amdhsa_system_sgpr_workgroup_id_x 1
		.amdhsa_system_sgpr_workgroup_id_y 0
		.amdhsa_system_sgpr_workgroup_id_z 0
		.amdhsa_system_sgpr_workgroup_info 0
		.amdhsa_system_vgpr_workitem_id 0
		.amdhsa_next_free_vgpr 30
		.amdhsa_next_free_sgpr 52
		.amdhsa_named_barrier_count 0
		.amdhsa_reserve_vcc 1
		.amdhsa_float_round_mode_32 0
		.amdhsa_float_round_mode_16_64 0
		.amdhsa_float_denorm_mode_32 3
		.amdhsa_float_denorm_mode_16_64 3
		.amdhsa_fp16_overflow 0
		.amdhsa_memory_ordered 1
		.amdhsa_forward_progress 1
		.amdhsa_inst_pref_size 40
		.amdhsa_round_robin_scheduling 0
		.amdhsa_exception_fp_ieee_invalid_op 0
		.amdhsa_exception_fp_denorm_src 0
		.amdhsa_exception_fp_ieee_div_zero 0
		.amdhsa_exception_fp_ieee_overflow 0
		.amdhsa_exception_fp_ieee_underflow 0
		.amdhsa_exception_fp_ieee_inexact 0
		.amdhsa_exception_int_div_zero 0
	.end_amdhsa_kernel
	.section	.text._ZL10cpy_scalarIXadL_ZL12cpy_1_scalarI6__half14__hip_bfloat16EvPKcPcEEEvS4_S5_lllllllllllllll,"axG",@progbits,_ZL10cpy_scalarIXadL_ZL12cpy_1_scalarI6__half14__hip_bfloat16EvPKcPcEEEvS4_S5_lllllllllllllll,comdat
.Lfunc_end21:
	.size	_ZL10cpy_scalarIXadL_ZL12cpy_1_scalarI6__half14__hip_bfloat16EvPKcPcEEEvS4_S5_lllllllllllllll, .Lfunc_end21-_ZL10cpy_scalarIXadL_ZL12cpy_1_scalarI6__half14__hip_bfloat16EvPKcPcEEEvS4_S5_lllllllllllllll
                                        ; -- End function
	.set _ZL10cpy_scalarIXadL_ZL12cpy_1_scalarI6__half14__hip_bfloat16EvPKcPcEEEvS4_S5_lllllllllllllll.num_vgpr, 30
	.set _ZL10cpy_scalarIXadL_ZL12cpy_1_scalarI6__half14__hip_bfloat16EvPKcPcEEEvS4_S5_lllllllllllllll.num_agpr, 0
	.set _ZL10cpy_scalarIXadL_ZL12cpy_1_scalarI6__half14__hip_bfloat16EvPKcPcEEEvS4_S5_lllllllllllllll.numbered_sgpr, 52
	.set _ZL10cpy_scalarIXadL_ZL12cpy_1_scalarI6__half14__hip_bfloat16EvPKcPcEEEvS4_S5_lllllllllllllll.num_named_barrier, 0
	.set _ZL10cpy_scalarIXadL_ZL12cpy_1_scalarI6__half14__hip_bfloat16EvPKcPcEEEvS4_S5_lllllllllllllll.private_seg_size, 0
	.set _ZL10cpy_scalarIXadL_ZL12cpy_1_scalarI6__half14__hip_bfloat16EvPKcPcEEEvS4_S5_lllllllllllllll.uses_vcc, 1
	.set _ZL10cpy_scalarIXadL_ZL12cpy_1_scalarI6__half14__hip_bfloat16EvPKcPcEEEvS4_S5_lllllllllllllll.uses_flat_scratch, 0
	.set _ZL10cpy_scalarIXadL_ZL12cpy_1_scalarI6__half14__hip_bfloat16EvPKcPcEEEvS4_S5_lllllllllllllll.has_dyn_sized_stack, 0
	.set _ZL10cpy_scalarIXadL_ZL12cpy_1_scalarI6__half14__hip_bfloat16EvPKcPcEEEvS4_S5_lllllllllllllll.has_recursion, 0
	.set _ZL10cpy_scalarIXadL_ZL12cpy_1_scalarI6__half14__hip_bfloat16EvPKcPcEEEvS4_S5_lllllllllllllll.has_indirect_call, 0
	.section	.AMDGPU.csdata,"",@progbits
; Kernel info:
; codeLenInByte = 5016
; TotalNumSgprs: 54
; NumVgprs: 30
; ScratchSize: 0
; MemoryBound: 0
; FloatMode: 240
; IeeeMode: 1
; LDSByteSize: 0 bytes/workgroup (compile time only)
; SGPRBlocks: 0
; VGPRBlocks: 1
; NumSGPRsForWavesPerEU: 54
; NumVGPRsForWavesPerEU: 30
; NamedBarCnt: 0
; Occupancy: 16
; WaveLimiterHint : 0
; COMPUTE_PGM_RSRC2:SCRATCH_EN: 0
; COMPUTE_PGM_RSRC2:USER_SGPR: 2
; COMPUTE_PGM_RSRC2:TRAP_HANDLER: 0
; COMPUTE_PGM_RSRC2:TGID_X_EN: 1
; COMPUTE_PGM_RSRC2:TGID_Y_EN: 0
; COMPUTE_PGM_RSRC2:TGID_Z_EN: 0
; COMPUTE_PGM_RSRC2:TIDIG_COMP_CNT: 0
	.section	.text._ZL21cpy_scalar_contiguousI6__halffEvPKcPcl,"axG",@progbits,_ZL21cpy_scalar_contiguousI6__halffEvPKcPcl,comdat
	.globl	_ZL21cpy_scalar_contiguousI6__halffEvPKcPcl ; -- Begin function _ZL21cpy_scalar_contiguousI6__halffEvPKcPcl
	.p2align	8
	.type	_ZL21cpy_scalar_contiguousI6__halffEvPKcPcl,@function
_ZL21cpy_scalar_contiguousI6__halffEvPKcPcl: ; @_ZL21cpy_scalar_contiguousI6__halffEvPKcPcl
; %bb.0:
	s_clause 0x1
	s_load_b32 s4, s[0:1], 0x24
	s_load_b64 s[2:3], s[0:1], 0x10
	s_bfe_u32 s5, ttmp6, 0x4000c
	s_and_b32 s6, ttmp6, 15
	s_add_co_i32 s5, s5, 1
	s_getreg_b32 s7, hwreg(HW_REG_IB_STS2, 6, 4)
	s_mul_i32 s5, ttmp9, s5
	v_mov_b32_e32 v1, 0
	s_add_co_i32 s6, s6, s5
	s_wait_kmcnt 0x0
	s_and_b32 s4, s4, 0xffff
	s_cmp_eq_u32 s7, 0
	s_cselect_b32 s5, ttmp9, s6
	s_delay_alu instid0(SALU_CYCLE_1) | instskip(NEXT) | instid1(VALU_DEP_1)
	v_mad_nc_u64_u32 v[0:1], s4, s5, v[0:1]
	v_cmp_gt_i64_e32 vcc_lo, s[2:3], v[0:1]
	s_and_saveexec_b32 s2, vcc_lo
	s_cbranch_execz .LBB22_2
; %bb.1:
	s_load_b128 s[0:3], s[0:1], 0x0
	s_wait_kmcnt 0x0
	v_lshl_add_u64 v[2:3], v[0:1], 1, s[0:1]
	v_lshl_add_u64 v[0:1], v[0:1], 2, s[2:3]
	global_load_u16 v2, v[2:3], off
	s_wait_loadcnt 0x0
	v_cvt_f32_f16_e32 v2, v2
	global_store_b32 v[0:1], v2, off
.LBB22_2:
	s_endpgm
	.section	.rodata,"a",@progbits
	.p2align	6, 0x0
	.amdhsa_kernel _ZL21cpy_scalar_contiguousI6__halffEvPKcPcl
		.amdhsa_group_segment_fixed_size 0
		.amdhsa_private_segment_fixed_size 0
		.amdhsa_kernarg_size 280
		.amdhsa_user_sgpr_count 2
		.amdhsa_user_sgpr_dispatch_ptr 0
		.amdhsa_user_sgpr_queue_ptr 0
		.amdhsa_user_sgpr_kernarg_segment_ptr 1
		.amdhsa_user_sgpr_dispatch_id 0
		.amdhsa_user_sgpr_kernarg_preload_length 0
		.amdhsa_user_sgpr_kernarg_preload_offset 0
		.amdhsa_user_sgpr_private_segment_size 0
		.amdhsa_wavefront_size32 1
		.amdhsa_uses_dynamic_stack 0
		.amdhsa_enable_private_segment 0
		.amdhsa_system_sgpr_workgroup_id_x 1
		.amdhsa_system_sgpr_workgroup_id_y 0
		.amdhsa_system_sgpr_workgroup_id_z 0
		.amdhsa_system_sgpr_workgroup_info 0
		.amdhsa_system_vgpr_workitem_id 0
		.amdhsa_next_free_vgpr 4
		.amdhsa_next_free_sgpr 8
		.amdhsa_named_barrier_count 0
		.amdhsa_reserve_vcc 1
		.amdhsa_float_round_mode_32 0
		.amdhsa_float_round_mode_16_64 0
		.amdhsa_float_denorm_mode_32 3
		.amdhsa_float_denorm_mode_16_64 3
		.amdhsa_fp16_overflow 0
		.amdhsa_memory_ordered 1
		.amdhsa_forward_progress 1
		.amdhsa_inst_pref_size 2
		.amdhsa_round_robin_scheduling 0
		.amdhsa_exception_fp_ieee_invalid_op 0
		.amdhsa_exception_fp_denorm_src 0
		.amdhsa_exception_fp_ieee_div_zero 0
		.amdhsa_exception_fp_ieee_overflow 0
		.amdhsa_exception_fp_ieee_underflow 0
		.amdhsa_exception_fp_ieee_inexact 0
		.amdhsa_exception_int_div_zero 0
	.end_amdhsa_kernel
	.section	.text._ZL21cpy_scalar_contiguousI6__halffEvPKcPcl,"axG",@progbits,_ZL21cpy_scalar_contiguousI6__halffEvPKcPcl,comdat
.Lfunc_end22:
	.size	_ZL21cpy_scalar_contiguousI6__halffEvPKcPcl, .Lfunc_end22-_ZL21cpy_scalar_contiguousI6__halffEvPKcPcl
                                        ; -- End function
	.set _ZL21cpy_scalar_contiguousI6__halffEvPKcPcl.num_vgpr, 4
	.set _ZL21cpy_scalar_contiguousI6__halffEvPKcPcl.num_agpr, 0
	.set _ZL21cpy_scalar_contiguousI6__halffEvPKcPcl.numbered_sgpr, 8
	.set _ZL21cpy_scalar_contiguousI6__halffEvPKcPcl.num_named_barrier, 0
	.set _ZL21cpy_scalar_contiguousI6__halffEvPKcPcl.private_seg_size, 0
	.set _ZL21cpy_scalar_contiguousI6__halffEvPKcPcl.uses_vcc, 1
	.set _ZL21cpy_scalar_contiguousI6__halffEvPKcPcl.uses_flat_scratch, 0
	.set _ZL21cpy_scalar_contiguousI6__halffEvPKcPcl.has_dyn_sized_stack, 0
	.set _ZL21cpy_scalar_contiguousI6__halffEvPKcPcl.has_recursion, 0
	.set _ZL21cpy_scalar_contiguousI6__halffEvPKcPcl.has_indirect_call, 0
	.section	.AMDGPU.csdata,"",@progbits
; Kernel info:
; codeLenInByte = 160
; TotalNumSgprs: 10
; NumVgprs: 4
; ScratchSize: 0
; MemoryBound: 0
; FloatMode: 240
; IeeeMode: 1
; LDSByteSize: 0 bytes/workgroup (compile time only)
; SGPRBlocks: 0
; VGPRBlocks: 0
; NumSGPRsForWavesPerEU: 10
; NumVGPRsForWavesPerEU: 4
; NamedBarCnt: 0
; Occupancy: 16
; WaveLimiterHint : 0
; COMPUTE_PGM_RSRC2:SCRATCH_EN: 0
; COMPUTE_PGM_RSRC2:USER_SGPR: 2
; COMPUTE_PGM_RSRC2:TRAP_HANDLER: 0
; COMPUTE_PGM_RSRC2:TGID_X_EN: 1
; COMPUTE_PGM_RSRC2:TGID_Y_EN: 0
; COMPUTE_PGM_RSRC2:TGID_Z_EN: 0
; COMPUTE_PGM_RSRC2:TIDIG_COMP_CNT: 0
	.section	.text._ZL10cpy_scalarIXadL_ZL12cpy_1_scalarI6__halffEvPKcPcEEEvS3_S4_lllllllllllllll,"axG",@progbits,_ZL10cpy_scalarIXadL_ZL12cpy_1_scalarI6__halffEvPKcPcEEEvS3_S4_lllllllllllllll,comdat
	.globl	_ZL10cpy_scalarIXadL_ZL12cpy_1_scalarI6__halffEvPKcPcEEEvS3_S4_lllllllllllllll ; -- Begin function _ZL10cpy_scalarIXadL_ZL12cpy_1_scalarI6__halffEvPKcPcEEEvS3_S4_lllllllllllllll
	.p2align	8
	.type	_ZL10cpy_scalarIXadL_ZL12cpy_1_scalarI6__halffEvPKcPcEEEvS3_S4_lllllllllllllll,@function
_ZL10cpy_scalarIXadL_ZL12cpy_1_scalarI6__halffEvPKcPcEEEvS3_S4_lllllllllllllll: ; @_ZL10cpy_scalarIXadL_ZL12cpy_1_scalarI6__halffEvPKcPcEEEvS3_S4_lllllllllllllll
; %bb.0:
	s_load_b32 s2, s[0:1], 0x94
	s_bfe_u32 s4, ttmp6, 0x4000c
	v_mov_b32_e32 v2, 0
	s_add_co_i32 s21, s4, 1
	s_load_b512 s[4:19], s[0:1], 0x0
	s_and_b32 s3, ttmp6, 15
	s_mul_i32 s21, ttmp9, s21
	s_getreg_b32 s20, hwreg(HW_REG_IB_STS2, 6, 4)
	v_mov_b32_e32 v1, v2
	s_add_co_i32 s3, s3, s21
	s_wait_kmcnt 0x0
	s_and_b32 s2, s2, 0xffff
	s_cmp_eq_u32 s20, 0
	s_cselect_b32 s3, ttmp9, s3
	s_delay_alu instid0(SALU_CYCLE_1) | instskip(SKIP_1) | instid1(VALU_DEP_1)
	v_mad_nc_u64_u32 v[4:5], s2, s3, v[0:1]
	s_mov_b32 s2, exec_lo
	v_cmpx_gt_i64_e64 s[8:9], v[4:5]
	s_cbranch_execz .LBB23_26
; %bb.1:
	s_mul_u64 s[8:9], s[12:13], s[10:11]
                                        ; implicit-def: $vgpr0_vgpr1
	s_mov_b32 s2, exec_lo
	s_mul_u64 s[12:13], s[8:9], s[14:15]
	s_delay_alu instid0(SALU_CYCLE_1) | instskip(NEXT) | instid1(VALU_DEP_1)
	v_dual_ashrrev_i32 v8, 31, v5 :: v_dual_bitop2_b32 v3, s13, v5 bitop3:0x54
	v_cmpx_ne_u64_e32 0, v[2:3]
	s_xor_b32 s3, exec_lo, s2
	s_cbranch_execz .LBB23_3
; %bb.2:
	s_ashr_i32 s14, s13, 31
	s_mov_b32 s29, 0
	s_mov_b32 s15, s14
	v_dual_mov_b32 v9, v8 :: v_dual_mov_b32 v3, 0
	s_add_nc_u64 s[20:21], s[12:13], s[14:15]
	s_delay_alu instid0(SALU_CYCLE_1) | instskip(NEXT) | instid1(VALU_DEP_1)
	s_xor_b64 s[20:21], s[20:21], s[14:15]
	v_add_nc_u64_e32 v[0:1], v[4:5], v[8:9]
	s_cvt_f32_u32 s2, s20
	s_cvt_f32_u32 s15, s21
	s_sub_nc_u64 s[24:25], 0, s[20:21]
	v_dual_mov_b32 v7, v3 :: v_dual_mov_b32 v15, v3
	s_delay_alu instid0(SALU_CYCLE_1) | instskip(NEXT) | instid1(VALU_DEP_2)
	s_fmamk_f32 s2, s15, 0x4f800000, s2
	v_xor_b32_e32 v2, v0, v8
	v_xor_b32_e32 v6, v1, v8
	s_delay_alu instid0(SALU_CYCLE_1) | instskip(NEXT) | instid1(TRANS32_DEP_1)
	v_s_rcp_f32 s2, s2
	s_mul_f32 s2, s2, 0x5f7ffffc
	s_delay_alu instid0(SALU_CYCLE_3) | instskip(NEXT) | instid1(SALU_CYCLE_3)
	s_mul_f32 s15, s2, 0x2f800000
	s_trunc_f32 s15, s15
	s_delay_alu instid0(SALU_CYCLE_3) | instskip(SKIP_1) | instid1(SALU_CYCLE_2)
	s_fmamk_f32 s2, s15, 0xcf800000, s2
	s_cvt_u32_f32 s23, s15
	s_cvt_u32_f32 s22, s2
	s_delay_alu instid0(SALU_CYCLE_3) | instskip(NEXT) | instid1(SALU_CYCLE_1)
	s_mul_u64 s[26:27], s[24:25], s[22:23]
	s_mul_hi_u32 s31, s22, s27
	s_mul_i32 s30, s22, s27
	s_mul_hi_u32 s28, s22, s26
	s_mul_i32 s15, s23, s26
	s_add_nc_u64 s[30:31], s[28:29], s[30:31]
	s_mul_hi_u32 s2, s23, s26
	s_mul_hi_u32 s33, s23, s27
	s_add_co_u32 s15, s30, s15
	s_add_co_ci_u32 s28, s31, s2
	s_mul_i32 s26, s23, s27
	s_add_co_ci_u32 s27, s33, 0
	s_delay_alu instid0(SALU_CYCLE_1) | instskip(NEXT) | instid1(SALU_CYCLE_1)
	s_add_nc_u64 s[26:27], s[28:29], s[26:27]
	s_add_co_u32 s22, s22, s26
	s_cselect_b32 s2, -1, 0
	s_delay_alu instid0(SALU_CYCLE_1) | instskip(SKIP_1) | instid1(SALU_CYCLE_1)
	s_cmp_lg_u32 s2, 0
	s_add_co_ci_u32 s23, s23, s27
	s_mul_u64 s[24:25], s[24:25], s[22:23]
	s_delay_alu instid0(SALU_CYCLE_1)
	s_mul_hi_u32 s27, s22, s25
	s_mul_i32 s26, s22, s25
	s_mul_hi_u32 s28, s22, s24
	s_mul_i32 s15, s23, s24
	s_add_nc_u64 s[26:27], s[28:29], s[26:27]
	s_mul_hi_u32 s2, s23, s24
	s_mul_hi_u32 s30, s23, s25
	s_add_co_u32 s15, s26, s15
	s_add_co_ci_u32 s28, s27, s2
	s_mul_i32 s24, s23, s25
	s_add_co_ci_u32 s25, s30, 0
	s_delay_alu instid0(SALU_CYCLE_1) | instskip(NEXT) | instid1(SALU_CYCLE_1)
	s_add_nc_u64 s[24:25], s[28:29], s[24:25]
	s_add_co_u32 s2, s22, s24
	s_cselect_b32 s15, -1, 0
	v_nop
	v_mul_hi_u32 v14, v2, s2
	s_cmp_lg_u32 s15, 0
	s_add_co_ci_u32 s28, s23, s25
	s_mov_b64 s[22:23], 0xffffffff
	v_mul_u64_e32 v[10:11], s[28:29], v[2:3]
	s_and_b64 s[22:23], s[2:3], s[22:23]
	v_mul_u64_e32 v[12:13], s[28:29], v[6:7]
	v_mul_u64_e32 v[0:1], s[22:23], v[6:7]
	s_delay_alu instid0(VALU_DEP_3) | instskip(NEXT) | instid1(VALU_DEP_1)
	v_add_nc_u64_e32 v[10:11], v[14:15], v[10:11]
	v_add_co_u32 v0, vcc_lo, v10, v0
	s_delay_alu instid0(VALU_DEP_2) | instskip(SKIP_1) | instid1(VALU_DEP_1)
	v_add_co_ci_u32_e32 v14, vcc_lo, v11, v1, vcc_lo
	v_add_co_ci_u32_e32 v13, vcc_lo, 0, v13, vcc_lo
	v_add_nc_u64_e32 v[0:1], v[14:15], v[12:13]
	s_delay_alu instid0(VALU_DEP_1) | instskip(NEXT) | instid1(VALU_DEP_1)
	v_mul_u64_e32 v[10:11], s[20:21], v[0:1]
	v_sub_nc_u32_e32 v3, v6, v11
	s_delay_alu instid0(VALU_DEP_2) | instskip(NEXT) | instid1(VALU_DEP_1)
	v_sub_co_u32 v2, vcc_lo, v2, v10
	v_sub_co_ci_u32_e64 v9, null, v6, v11, vcc_lo
	s_delay_alu instid0(VALU_DEP_3) | instskip(NEXT) | instid1(VALU_DEP_3)
	v_subrev_co_ci_u32_e64 v3, null, s21, v3, vcc_lo
	v_sub_co_u32 v7, s2, v2, s20
	s_delay_alu instid0(VALU_DEP_1) | instskip(NEXT) | instid1(VALU_DEP_2)
	v_subrev_co_ci_u32_e64 v3, null, 0, v3, s2
	v_cmp_le_u32_e32 vcc_lo, s20, v7
	v_cndmask_b32_e64 v6, 0, -1, vcc_lo
	s_delay_alu instid0(VALU_DEP_3)
	v_cmp_le_u32_e32 vcc_lo, s21, v3
	v_cndmask_b32_e64 v7, 0, -1, vcc_lo
	v_cmp_le_u32_e32 vcc_lo, s20, v2
	v_cndmask_b32_e64 v10, 0, -1, vcc_lo
	;; [unrolled: 2-line block ×3, first 2 shown]
	v_cmp_eq_u32_e32 vcc_lo, s21, v3
	v_add_nc_u64_e32 v[2:3], 2, v[0:1]
	v_cndmask_b32_e32 v12, v7, v6, vcc_lo
	v_cmp_eq_u32_e32 vcc_lo, s21, v9
	v_add_nc_u64_e32 v[6:7], 1, v[0:1]
	v_cndmask_b32_e32 v9, v11, v10, vcc_lo
	s_delay_alu instid0(VALU_DEP_4) | instskip(NEXT) | instid1(VALU_DEP_3)
	v_cmp_ne_u32_e32 vcc_lo, 0, v12
	v_dual_cndmask_b32 v3, v7, v3 :: v_dual_cndmask_b32 v6, v6, v2
	v_xor_b32_e32 v2, s14, v8
	s_delay_alu instid0(VALU_DEP_4) | instskip(NEXT) | instid1(VALU_DEP_1)
	v_cmp_ne_u32_e64 s2, 0, v9
	v_dual_cndmask_b32 v1, v1, v3, s2 :: v_dual_cndmask_b32 v0, v0, v6, s2
	s_delay_alu instid0(VALU_DEP_1) | instskip(NEXT) | instid1(VALU_DEP_2)
	v_dual_mov_b32 v3, v2 :: v_dual_bitop2_b32 v1, v1, v2 bitop3:0x14
	v_xor_b32_e32 v0, v0, v2
	s_delay_alu instid0(VALU_DEP_1)
	v_sub_nc_u64_e32 v[0:1], v[0:1], v[2:3]
.LBB23_3:
	s_and_not1_saveexec_b32 s2, s3
	s_cbranch_execz .LBB23_5
; %bb.4:
	v_cvt_f32_u32_e32 v0, s12
	s_sub_co_i32 s3, 0, s12
	s_delay_alu instid0(VALU_DEP_1) | instskip(SKIP_1) | instid1(TRANS32_DEP_1)
	v_rcp_iflag_f32_e32 v0, v0
	v_nop
	v_mul_f32_e32 v0, 0x4f7ffffe, v0
	s_delay_alu instid0(VALU_DEP_1) | instskip(NEXT) | instid1(VALU_DEP_1)
	v_cvt_u32_f32_e32 v0, v0
	v_mul_lo_u32 v1, s3, v0
	s_delay_alu instid0(VALU_DEP_1) | instskip(NEXT) | instid1(VALU_DEP_1)
	v_mul_hi_u32 v1, v0, v1
	v_add_nc_u32_e32 v0, v0, v1
	s_delay_alu instid0(VALU_DEP_1) | instskip(NEXT) | instid1(VALU_DEP_1)
	v_mul_hi_u32 v0, v4, v0
	v_mul_lo_u32 v1, v0, s12
	s_delay_alu instid0(VALU_DEP_1) | instskip(NEXT) | instid1(VALU_DEP_1)
	v_dual_add_nc_u32 v2, 1, v0 :: v_dual_sub_nc_u32 v1, v4, v1
	v_subrev_nc_u32_e32 v3, s12, v1
	v_cmp_le_u32_e32 vcc_lo, s12, v1
	s_delay_alu instid0(VALU_DEP_2) | instskip(NEXT) | instid1(VALU_DEP_1)
	v_dual_cndmask_b32 v1, v1, v3 :: v_dual_cndmask_b32 v0, v0, v2
	v_cmp_le_u32_e32 vcc_lo, s12, v1
	s_delay_alu instid0(VALU_DEP_2) | instskip(NEXT) | instid1(VALU_DEP_1)
	v_dual_mov_b32 v1, 0 :: v_dual_add_nc_u32 v2, 1, v0
	v_cndmask_b32_e32 v0, v0, v2, vcc_lo
.LBB23_5:
	s_or_b32 exec_lo, exec_lo, s2
	s_delay_alu instid0(VALU_DEP_1) | instskip(SKIP_2) | instid1(VALU_DEP_2)
	v_mul_u64_e32 v[2:3], s[12:13], v[0:1]
	s_mov_b32 s2, exec_lo
	v_mov_b32_e32 v10, 0
	v_sub_nc_u64_e32 v[6:7], v[4:5], v[2:3]
                                        ; implicit-def: $vgpr2_vgpr3
	s_delay_alu instid0(VALU_DEP_1) | instskip(NEXT) | instid1(VALU_DEP_1)
	v_or_b32_e32 v11, s9, v7
	v_cmpx_ne_u64_e32 0, v[10:11]
	s_xor_b32 s3, exec_lo, s2
	s_cbranch_execz .LBB23_7
; %bb.6:
	s_ashr_i32 s12, s9, 31
	s_mov_b32 s27, 0
	s_mov_b32 s13, s12
	v_dual_mov_b32 v15, v10 :: v_dual_ashrrev_i32 v2, 31, v7
	s_add_nc_u64 s[14:15], s[8:9], s[12:13]
	v_dual_mov_b32 v23, v10 :: v_dual_mov_b32 v11, v10
	s_xor_b64 s[14:15], s[14:15], s[12:13]
	s_delay_alu instid0(VALU_DEP_2) | instskip(SKIP_3) | instid1(VALU_DEP_1)
	v_mov_b32_e32 v3, v2
	s_cvt_f32_u32 s2, s14
	s_cvt_f32_u32 s13, s15
	s_sub_nc_u64 s[22:23], 0, s[14:15]
	v_add_nc_u64_e32 v[12:13], v[6:7], v[2:3]
	s_delay_alu instid0(SALU_CYCLE_1) | instskip(SKIP_1) | instid1(SALU_CYCLE_2)
	s_fmamk_f32 s2, s13, 0x4f800000, s2
	v_mov_b32_e32 v17, v10
	v_s_rcp_f32 s2, s2
	s_delay_alu instid0(VALU_DEP_2) | instskip(NEXT) | instid1(VALU_DEP_3)
	v_xor_b32_e32 v14, v12, v2
	v_xor_b32_e32 v16, v13, v2
	;; [unrolled: 1-line block ×3, first 2 shown]
	s_delay_alu instid0(TRANS32_DEP_1) | instskip(NEXT) | instid1(SALU_CYCLE_3)
	s_mul_f32 s2, s2, 0x5f7ffffc
	s_mul_f32 s13, s2, 0x2f800000
	s_delay_alu instid0(SALU_CYCLE_3) | instskip(NEXT) | instid1(SALU_CYCLE_3)
	s_trunc_f32 s13, s13
	s_fmamk_f32 s2, s13, 0xcf800000, s2
	s_cvt_u32_f32 s21, s13
	s_delay_alu instid0(SALU_CYCLE_2) | instskip(NEXT) | instid1(SALU_CYCLE_3)
	s_cvt_u32_f32 s20, s2
	s_mul_u64 s[24:25], s[22:23], s[20:21]
	s_delay_alu instid0(SALU_CYCLE_1)
	s_mul_hi_u32 s29, s20, s25
	s_mul_i32 s28, s20, s25
	s_mul_hi_u32 s26, s20, s24
	s_mul_i32 s13, s21, s24
	s_add_nc_u64 s[28:29], s[26:27], s[28:29]
	s_mul_hi_u32 s2, s21, s24
	s_mul_hi_u32 s30, s21, s25
	s_add_co_u32 s13, s28, s13
	s_add_co_ci_u32 s26, s29, s2
	s_mul_i32 s24, s21, s25
	s_add_co_ci_u32 s25, s30, 0
	s_delay_alu instid0(SALU_CYCLE_1) | instskip(NEXT) | instid1(SALU_CYCLE_1)
	s_add_nc_u64 s[24:25], s[26:27], s[24:25]
	s_add_co_u32 s20, s20, s24
	s_cselect_b32 s2, -1, 0
	s_delay_alu instid0(SALU_CYCLE_1) | instskip(SKIP_1) | instid1(SALU_CYCLE_1)
	s_cmp_lg_u32 s2, 0
	s_add_co_ci_u32 s21, s21, s25
	s_mul_u64 s[22:23], s[22:23], s[20:21]
	s_delay_alu instid0(SALU_CYCLE_1)
	s_mul_hi_u32 s25, s20, s23
	s_mul_i32 s24, s20, s23
	s_mul_hi_u32 s26, s20, s22
	s_mul_i32 s13, s21, s22
	s_add_nc_u64 s[24:25], s[26:27], s[24:25]
	s_mul_hi_u32 s2, s21, s22
	s_mul_hi_u32 s28, s21, s23
	s_add_co_u32 s13, s24, s13
	s_add_co_ci_u32 s26, s25, s2
	s_mul_i32 s22, s21, s23
	s_add_co_ci_u32 s23, s28, 0
	s_delay_alu instid0(SALU_CYCLE_1) | instskip(NEXT) | instid1(SALU_CYCLE_1)
	s_add_nc_u64 s[22:23], s[26:27], s[22:23]
	s_add_co_u32 s2, s20, s22
	s_cselect_b32 s13, -1, 0
	v_mul_hi_u32 v22, v14, s2
	s_cmp_lg_u32 s13, 0
	s_add_co_ci_u32 s26, s21, s23
	s_mov_b64 s[20:21], 0xffffffff
	v_mul_u64_e32 v[18:19], s[26:27], v[14:15]
	s_and_b64 s[20:21], s[2:3], s[20:21]
	v_mul_u64_e32 v[20:21], s[26:27], v[16:17]
	v_mul_u64_e32 v[12:13], s[20:21], v[16:17]
	s_delay_alu instid0(VALU_DEP_3) | instskip(NEXT) | instid1(VALU_DEP_1)
	v_add_nc_u64_e32 v[18:19], v[22:23], v[18:19]
	v_add_co_u32 v3, vcc_lo, v18, v12
	s_delay_alu instid0(VALU_DEP_2) | instskip(SKIP_1) | instid1(VALU_DEP_1)
	v_add_co_ci_u32_e32 v10, vcc_lo, v19, v13, vcc_lo
	v_add_co_ci_u32_e32 v21, vcc_lo, 0, v21, vcc_lo
	v_add_nc_u64_e32 v[10:11], v[10:11], v[20:21]
	s_delay_alu instid0(VALU_DEP_1) | instskip(NEXT) | instid1(VALU_DEP_1)
	v_mul_u64_e32 v[12:13], s[14:15], v[10:11]
	v_sub_co_u32 v9, vcc_lo, v14, v12
	v_add_nc_u64_e32 v[14:15], 1, v[10:11]
	s_delay_alu instid0(VALU_DEP_3) | instskip(SKIP_1) | instid1(VALU_DEP_4)
	v_sub_nc_u32_e32 v3, v16, v13
	v_sub_co_ci_u32_e64 v16, null, v16, v13, vcc_lo
	v_sub_co_u32 v12, s2, v9, s14
	s_delay_alu instid0(VALU_DEP_3) | instskip(NEXT) | instid1(VALU_DEP_2)
	v_subrev_co_ci_u32_e64 v3, null, s15, v3, vcc_lo
	v_cmp_le_u32_e32 vcc_lo, s14, v12
	s_delay_alu instid0(VALU_DEP_2) | instskip(SKIP_1) | instid1(VALU_DEP_2)
	v_subrev_co_ci_u32_e64 v3, null, 0, v3, s2
	v_cndmask_b32_e64 v12, 0, -1, vcc_lo
	v_cmp_le_u32_e32 vcc_lo, s15, v3
	v_cndmask_b32_e64 v13, 0, -1, vcc_lo
	v_cmp_le_u32_e32 vcc_lo, s14, v9
	v_cndmask_b32_e64 v9, 0, -1, vcc_lo
	v_cmp_le_u32_e32 vcc_lo, s15, v16
	v_cndmask_b32_e64 v17, 0, -1, vcc_lo
	v_cmp_eq_u32_e32 vcc_lo, s15, v3
	v_cndmask_b32_e32 v3, v13, v12, vcc_lo
	v_cmp_eq_u32_e32 vcc_lo, s15, v16
	v_add_nc_u64_e32 v[12:13], 2, v[10:11]
	v_cndmask_b32_e32 v9, v17, v9, vcc_lo
	s_delay_alu instid0(VALU_DEP_4) | instskip(NEXT) | instid1(VALU_DEP_2)
	v_cmp_ne_u32_e32 vcc_lo, 0, v3
	v_cmp_ne_u32_e64 s2, 0, v9
	s_delay_alu instid0(VALU_DEP_4) | instskip(NEXT) | instid1(VALU_DEP_1)
	v_cndmask_b32_e32 v9, v14, v12, vcc_lo
	v_cndmask_b32_e64 v9, v10, v9, s2
	s_delay_alu instid0(VALU_DEP_1) | instskip(NEXT) | instid1(VALU_DEP_1)
	v_dual_cndmask_b32 v3, v15, v13, vcc_lo :: v_dual_bitop2_b32 v10, v9, v2 bitop3:0x14
	v_dual_cndmask_b32 v11, v11, v3, s2 :: v_dual_mov_b32 v3, v2
	s_delay_alu instid0(VALU_DEP_1) | instskip(NEXT) | instid1(VALU_DEP_1)
	v_xor_b32_e32 v11, v11, v2
	v_sub_nc_u64_e32 v[2:3], v[10:11], v[2:3]
.LBB23_7:
	s_and_not1_saveexec_b32 s2, s3
	s_cbranch_execz .LBB23_9
; %bb.8:
	v_cvt_f32_u32_e32 v2, s8
	s_sub_co_i32 s3, 0, s8
	s_delay_alu instid0(VALU_DEP_1) | instskip(SKIP_1) | instid1(TRANS32_DEP_1)
	v_rcp_iflag_f32_e32 v2, v2
	v_nop
	v_mul_f32_e32 v2, 0x4f7ffffe, v2
	s_delay_alu instid0(VALU_DEP_1) | instskip(NEXT) | instid1(VALU_DEP_1)
	v_cvt_u32_f32_e32 v2, v2
	v_mul_lo_u32 v3, s3, v2
	s_delay_alu instid0(VALU_DEP_1) | instskip(NEXT) | instid1(VALU_DEP_1)
	v_mul_hi_u32 v3, v2, v3
	v_add_nc_u32_e32 v2, v2, v3
	s_delay_alu instid0(VALU_DEP_1) | instskip(NEXT) | instid1(VALU_DEP_1)
	v_mul_hi_u32 v2, v6, v2
	v_mul_lo_u32 v3, v2, s8
	s_delay_alu instid0(VALU_DEP_1) | instskip(NEXT) | instid1(VALU_DEP_1)
	v_dual_add_nc_u32 v9, 1, v2 :: v_dual_sub_nc_u32 v3, v6, v3
	v_subrev_nc_u32_e32 v10, s8, v3
	v_cmp_le_u32_e32 vcc_lo, s8, v3
	s_delay_alu instid0(VALU_DEP_2) | instskip(NEXT) | instid1(VALU_DEP_1)
	v_dual_cndmask_b32 v3, v3, v10 :: v_dual_cndmask_b32 v2, v2, v9
	v_cmp_le_u32_e32 vcc_lo, s8, v3
	s_delay_alu instid0(VALU_DEP_2) | instskip(NEXT) | instid1(VALU_DEP_1)
	v_dual_add_nc_u32 v9, 1, v2 :: v_dual_mov_b32 v3, 0
	v_cndmask_b32_e32 v2, v2, v9, vcc_lo
.LBB23_9:
	s_or_b32 exec_lo, exec_lo, s2
	s_delay_alu instid0(VALU_DEP_1) | instskip(SKIP_2) | instid1(VALU_DEP_2)
	v_mul_u64_e32 v[10:11], s[8:9], v[2:3]
	s_mov_b32 s2, exec_lo
	v_mov_b32_e32 v12, 0
	v_sub_nc_u64_e32 v[6:7], v[6:7], v[10:11]
                                        ; implicit-def: $vgpr10_vgpr11
	s_delay_alu instid0(VALU_DEP_1) | instskip(NEXT) | instid1(VALU_DEP_1)
	v_or_b32_e32 v13, s11, v7
	v_cmpx_ne_u64_e32 0, v[12:13]
	s_xor_b32 s3, exec_lo, s2
	s_cbranch_execz .LBB23_11
; %bb.10:
	s_ashr_i32 s8, s11, 31
	s_mov_b32 s25, 0
	s_mov_b32 s9, s8
	v_dual_mov_b32 v17, v12 :: v_dual_ashrrev_i32 v10, 31, v7
	s_add_nc_u64 s[12:13], s[10:11], s[8:9]
	v_mov_b32_e32 v19, v12
	s_xor_b64 s[12:13], s[12:13], s[8:9]
	s_delay_alu instid0(VALU_DEP_2)
	v_mov_b32_e32 v11, v10
	s_cvt_f32_u32 s2, s12
	s_cvt_f32_u32 s9, s13
	s_sub_nc_u64 s[20:21], 0, s[12:13]
	v_mov_b32_e32 v25, v12
	v_add_nc_u64_e32 v[14:15], v[6:7], v[10:11]
	s_fmamk_f32 s2, s9, 0x4f800000, s2
	v_mov_b32_e32 v13, v12
	s_delay_alu instid0(SALU_CYCLE_2) | instskip(NEXT) | instid1(VALU_DEP_2)
	v_s_rcp_f32 s2, s2
	v_xor_b32_e32 v16, v14, v10
	s_delay_alu instid0(VALU_DEP_3) | instskip(SKIP_1) | instid1(TRANS32_DEP_1)
	v_xor_b32_e32 v18, v15, v10
	v_xor_b32_e32 v10, s8, v10
	s_mul_f32 s2, s2, 0x5f7ffffc
	s_delay_alu instid0(SALU_CYCLE_3) | instskip(NEXT) | instid1(SALU_CYCLE_3)
	s_mul_f32 s9, s2, 0x2f800000
	s_trunc_f32 s9, s9
	s_delay_alu instid0(SALU_CYCLE_3) | instskip(SKIP_1) | instid1(SALU_CYCLE_2)
	s_fmamk_f32 s2, s9, 0xcf800000, s2
	s_cvt_u32_f32 s15, s9
	s_cvt_u32_f32 s14, s2
	s_delay_alu instid0(SALU_CYCLE_3) | instskip(NEXT) | instid1(SALU_CYCLE_1)
	s_mul_u64 s[22:23], s[20:21], s[14:15]
	s_mul_hi_u32 s27, s14, s23
	s_mul_i32 s26, s14, s23
	s_mul_hi_u32 s24, s14, s22
	s_mul_i32 s9, s15, s22
	s_add_nc_u64 s[26:27], s[24:25], s[26:27]
	s_mul_hi_u32 s2, s15, s22
	s_mul_hi_u32 s28, s15, s23
	s_add_co_u32 s9, s26, s9
	s_add_co_ci_u32 s24, s27, s2
	s_mul_i32 s22, s15, s23
	s_add_co_ci_u32 s23, s28, 0
	s_delay_alu instid0(SALU_CYCLE_1) | instskip(NEXT) | instid1(SALU_CYCLE_1)
	s_add_nc_u64 s[22:23], s[24:25], s[22:23]
	s_add_co_u32 s14, s14, s22
	s_cselect_b32 s2, -1, 0
	s_delay_alu instid0(SALU_CYCLE_1) | instskip(SKIP_1) | instid1(SALU_CYCLE_1)
	s_cmp_lg_u32 s2, 0
	s_add_co_ci_u32 s15, s15, s23
	s_mul_u64 s[20:21], s[20:21], s[14:15]
	s_delay_alu instid0(SALU_CYCLE_1)
	s_mul_hi_u32 s23, s14, s21
	s_mul_i32 s22, s14, s21
	s_mul_hi_u32 s24, s14, s20
	s_mul_i32 s9, s15, s20
	s_add_nc_u64 s[22:23], s[24:25], s[22:23]
	s_mul_hi_u32 s2, s15, s20
	s_mul_hi_u32 s26, s15, s21
	s_add_co_u32 s9, s22, s9
	s_add_co_ci_u32 s24, s23, s2
	s_mul_i32 s20, s15, s21
	s_add_co_ci_u32 s21, s26, 0
	s_delay_alu instid0(SALU_CYCLE_1) | instskip(NEXT) | instid1(SALU_CYCLE_1)
	s_add_nc_u64 s[20:21], s[24:25], s[20:21]
	s_add_co_u32 s2, s14, s20
	s_cselect_b32 s9, -1, 0
	v_mul_hi_u32 v24, v16, s2
	s_cmp_lg_u32 s9, 0
	s_add_co_ci_u32 s24, s15, s21
	s_mov_b64 s[14:15], 0xffffffff
	v_mul_u64_e32 v[20:21], s[24:25], v[16:17]
	s_and_b64 s[14:15], s[2:3], s[14:15]
	v_mul_u64_e32 v[22:23], s[24:25], v[18:19]
	v_mul_u64_e32 v[14:15], s[14:15], v[18:19]
	s_delay_alu instid0(VALU_DEP_3) | instskip(NEXT) | instid1(VALU_DEP_1)
	v_add_nc_u64_e32 v[20:21], v[24:25], v[20:21]
	v_add_co_u32 v9, vcc_lo, v20, v14
	s_delay_alu instid0(VALU_DEP_2) | instskip(SKIP_1) | instid1(VALU_DEP_1)
	v_add_co_ci_u32_e32 v12, vcc_lo, v21, v15, vcc_lo
	v_add_co_ci_u32_e32 v23, vcc_lo, 0, v23, vcc_lo
	v_add_nc_u64_e32 v[12:13], v[12:13], v[22:23]
	s_delay_alu instid0(VALU_DEP_1) | instskip(NEXT) | instid1(VALU_DEP_1)
	v_mul_u64_e32 v[14:15], s[12:13], v[12:13]
	v_sub_co_u32 v11, vcc_lo, v16, v14
	v_add_nc_u64_e32 v[16:17], 1, v[12:13]
	s_delay_alu instid0(VALU_DEP_3) | instskip(SKIP_1) | instid1(VALU_DEP_4)
	v_sub_nc_u32_e32 v9, v18, v15
	v_sub_co_ci_u32_e64 v18, null, v18, v15, vcc_lo
	v_sub_co_u32 v14, s2, v11, s12
	s_delay_alu instid0(VALU_DEP_3) | instskip(NEXT) | instid1(VALU_DEP_2)
	v_subrev_co_ci_u32_e64 v9, null, s13, v9, vcc_lo
	v_cmp_le_u32_e32 vcc_lo, s12, v14
	s_delay_alu instid0(VALU_DEP_2) | instskip(SKIP_1) | instid1(VALU_DEP_2)
	v_subrev_co_ci_u32_e64 v9, null, 0, v9, s2
	v_cndmask_b32_e64 v14, 0, -1, vcc_lo
	v_cmp_le_u32_e32 vcc_lo, s13, v9
	v_cndmask_b32_e64 v15, 0, -1, vcc_lo
	v_cmp_le_u32_e32 vcc_lo, s12, v11
	;; [unrolled: 2-line block ×3, first 2 shown]
	v_cndmask_b32_e64 v19, 0, -1, vcc_lo
	v_cmp_eq_u32_e32 vcc_lo, s13, v9
	v_cndmask_b32_e32 v9, v15, v14, vcc_lo
	v_cmp_eq_u32_e32 vcc_lo, s13, v18
	v_add_nc_u64_e32 v[14:15], 2, v[12:13]
	v_cndmask_b32_e32 v11, v19, v11, vcc_lo
	s_delay_alu instid0(VALU_DEP_4) | instskip(NEXT) | instid1(VALU_DEP_2)
	v_cmp_ne_u32_e32 vcc_lo, 0, v9
	v_cmp_ne_u32_e64 s2, 0, v11
	s_delay_alu instid0(VALU_DEP_4) | instskip(NEXT) | instid1(VALU_DEP_1)
	v_dual_cndmask_b32 v9, v17, v15, vcc_lo :: v_dual_cndmask_b32 v11, v16, v14, vcc_lo
	v_dual_cndmask_b32 v12, v12, v11, s2 :: v_dual_mov_b32 v11, v10
	s_delay_alu instid0(VALU_DEP_1) | instskip(NEXT) | instid1(VALU_DEP_1)
	v_dual_cndmask_b32 v9, v13, v9, s2 :: v_dual_bitop2_b32 v12, v12, v10 bitop3:0x14
	v_xor_b32_e32 v13, v9, v10
	s_delay_alu instid0(VALU_DEP_1)
	v_sub_nc_u64_e32 v[10:11], v[12:13], v[10:11]
.LBB23_11:
	s_and_not1_saveexec_b32 s2, s3
	s_cbranch_execz .LBB23_13
; %bb.12:
	v_cvt_f32_u32_e32 v9, s10
	s_sub_co_i32 s3, 0, s10
	s_delay_alu instid0(VALU_DEP_1) | instskip(SKIP_1) | instid1(TRANS32_DEP_1)
	v_rcp_iflag_f32_e32 v9, v9
	v_nop
	v_mul_f32_e32 v9, 0x4f7ffffe, v9
	s_delay_alu instid0(VALU_DEP_1) | instskip(NEXT) | instid1(VALU_DEP_1)
	v_cvt_u32_f32_e32 v9, v9
	v_mul_lo_u32 v10, s3, v9
	s_delay_alu instid0(VALU_DEP_1) | instskip(NEXT) | instid1(VALU_DEP_1)
	v_mul_hi_u32 v10, v9, v10
	v_add_nc_u32_e32 v9, v9, v10
	s_delay_alu instid0(VALU_DEP_1) | instskip(NEXT) | instid1(VALU_DEP_1)
	v_mul_hi_u32 v9, v6, v9
	v_mul_lo_u32 v10, v9, s10
	s_delay_alu instid0(VALU_DEP_1) | instskip(NEXT) | instid1(VALU_DEP_1)
	v_dual_add_nc_u32 v11, 1, v9 :: v_dual_sub_nc_u32 v10, v6, v10
	v_subrev_nc_u32_e32 v12, s10, v10
	v_cmp_le_u32_e32 vcc_lo, s10, v10
	s_delay_alu instid0(VALU_DEP_2) | instskip(NEXT) | instid1(VALU_DEP_1)
	v_dual_cndmask_b32 v10, v10, v12 :: v_dual_cndmask_b32 v9, v9, v11
	v_cmp_le_u32_e32 vcc_lo, s10, v10
	s_delay_alu instid0(VALU_DEP_2) | instskip(NEXT) | instid1(VALU_DEP_1)
	v_add_nc_u32_e32 v11, 1, v9
	v_dual_cndmask_b32 v10, v9, v11 :: v_dual_mov_b32 v11, 0
.LBB23_13:
	s_or_b32 exec_lo, exec_lo, s2
	s_load_b512 s[36:51], s[0:1], 0x40
                                        ; implicit-def: $vgpr12_vgpr13
	s_mov_b32 s2, exec_lo
	v_mov_b32_e32 v14, 0
	s_wait_kmcnt 0x0
	s_mul_u64 s[8:9], s[42:43], s[40:41]
	s_delay_alu instid0(SALU_CYCLE_1) | instskip(NEXT) | instid1(SALU_CYCLE_1)
	s_mul_u64 s[12:13], s[8:9], s[44:45]
	v_or_b32_e32 v15, s13, v5
	s_delay_alu instid0(VALU_DEP_1)
	v_cmpx_ne_u64_e32 0, v[14:15]
	s_xor_b32 s3, exec_lo, s2
	s_cbranch_execz .LBB23_15
; %bb.14:
	s_ashr_i32 s14, s13, 31
	s_mov_b32 s29, 0
	s_mov_b32 s15, s14
	v_dual_mov_b32 v9, v8 :: v_dual_mov_b32 v17, v14
	s_add_nc_u64 s[20:21], s[12:13], s[14:15]
	v_mov_b32_e32 v15, v14
	s_xor_b64 s[20:21], s[20:21], s[14:15]
	s_delay_alu instid0(VALU_DEP_2) | instskip(SKIP_4) | instid1(SALU_CYCLE_1)
	v_add_nc_u64_e32 v[12:13], v[4:5], v[8:9]
	s_cvt_f32_u32 s2, s20
	s_cvt_f32_u32 s15, s21
	s_sub_nc_u64 s[24:25], 0, s[20:21]
	v_dual_mov_b32 v19, v14 :: v_dual_mov_b32 v25, v14
	s_fmamk_f32 s2, s15, 0x4f800000, s2
	s_delay_alu instid0(VALU_DEP_2) | instskip(SKIP_3) | instid1(TRANS32_DEP_1)
	v_xor_b32_e32 v16, v12, v8
	v_xor_b32_e32 v18, v13, v8
	;; [unrolled: 1-line block ×3, first 2 shown]
	v_s_rcp_f32 s2, s2
	s_mul_f32 s2, s2, 0x5f7ffffc
	s_delay_alu instid0(SALU_CYCLE_3) | instskip(NEXT) | instid1(SALU_CYCLE_3)
	s_mul_f32 s15, s2, 0x2f800000
	s_trunc_f32 s15, s15
	s_delay_alu instid0(SALU_CYCLE_3) | instskip(SKIP_1) | instid1(SALU_CYCLE_2)
	s_fmamk_f32 s2, s15, 0xcf800000, s2
	s_cvt_u32_f32 s23, s15
	s_cvt_u32_f32 s22, s2
	s_delay_alu instid0(SALU_CYCLE_3) | instskip(NEXT) | instid1(SALU_CYCLE_1)
	s_mul_u64 s[26:27], s[24:25], s[22:23]
	s_mul_hi_u32 s31, s22, s27
	s_mul_i32 s30, s22, s27
	s_mul_hi_u32 s28, s22, s26
	s_mul_i32 s15, s23, s26
	s_add_nc_u64 s[30:31], s[28:29], s[30:31]
	s_mul_hi_u32 s2, s23, s26
	s_mul_hi_u32 s33, s23, s27
	s_add_co_u32 s15, s30, s15
	s_add_co_ci_u32 s28, s31, s2
	s_mul_i32 s26, s23, s27
	s_add_co_ci_u32 s27, s33, 0
	s_delay_alu instid0(SALU_CYCLE_1) | instskip(NEXT) | instid1(SALU_CYCLE_1)
	s_add_nc_u64 s[26:27], s[28:29], s[26:27]
	s_add_co_u32 s22, s22, s26
	s_cselect_b32 s2, -1, 0
	s_delay_alu instid0(SALU_CYCLE_1) | instskip(SKIP_1) | instid1(SALU_CYCLE_1)
	s_cmp_lg_u32 s2, 0
	s_add_co_ci_u32 s23, s23, s27
	s_mul_u64 s[24:25], s[24:25], s[22:23]
	s_delay_alu instid0(SALU_CYCLE_1)
	s_mul_hi_u32 s27, s22, s25
	s_mul_i32 s26, s22, s25
	s_mul_hi_u32 s28, s22, s24
	s_mul_i32 s15, s23, s24
	s_add_nc_u64 s[26:27], s[28:29], s[26:27]
	s_mul_hi_u32 s2, s23, s24
	s_mul_hi_u32 s30, s23, s25
	s_add_co_u32 s15, s26, s15
	s_add_co_ci_u32 s28, s27, s2
	s_mul_i32 s24, s23, s25
	s_add_co_ci_u32 s25, s30, 0
	s_delay_alu instid0(SALU_CYCLE_1) | instskip(NEXT) | instid1(SALU_CYCLE_1)
	s_add_nc_u64 s[24:25], s[28:29], s[24:25]
	s_add_co_u32 s2, s22, s24
	s_cselect_b32 s15, -1, 0
	v_nop
	v_mul_hi_u32 v24, v16, s2
	s_cmp_lg_u32 s15, 0
	s_add_co_ci_u32 s28, s23, s25
	s_mov_b64 s[22:23], 0xffffffff
	v_mul_u64_e32 v[20:21], s[28:29], v[16:17]
	s_and_b64 s[22:23], s[2:3], s[22:23]
	v_mul_u64_e32 v[22:23], s[28:29], v[18:19]
	v_mul_u64_e32 v[12:13], s[22:23], v[18:19]
	s_delay_alu instid0(VALU_DEP_3) | instskip(NEXT) | instid1(VALU_DEP_1)
	v_add_nc_u64_e32 v[20:21], v[24:25], v[20:21]
	v_add_co_u32 v9, vcc_lo, v20, v12
	s_delay_alu instid0(VALU_DEP_2) | instskip(SKIP_1) | instid1(VALU_DEP_1)
	v_add_co_ci_u32_e32 v14, vcc_lo, v21, v13, vcc_lo
	v_add_co_ci_u32_e32 v23, vcc_lo, 0, v23, vcc_lo
	v_add_nc_u64_e32 v[12:13], v[14:15], v[22:23]
	s_delay_alu instid0(VALU_DEP_1) | instskip(NEXT) | instid1(VALU_DEP_1)
	v_mul_u64_e32 v[14:15], s[20:21], v[12:13]
	v_sub_nc_u32_e32 v9, v18, v15
	s_delay_alu instid0(VALU_DEP_2) | instskip(NEXT) | instid1(VALU_DEP_1)
	v_sub_co_u32 v14, vcc_lo, v16, v14
	v_sub_co_ci_u32_e64 v18, null, v18, v15, vcc_lo
	s_delay_alu instid0(VALU_DEP_3) | instskip(NEXT) | instid1(VALU_DEP_3)
	v_subrev_co_ci_u32_e64 v9, null, s21, v9, vcc_lo
	v_sub_co_u32 v16, s2, v14, s20
	s_delay_alu instid0(VALU_DEP_1) | instskip(NEXT) | instid1(VALU_DEP_2)
	v_subrev_co_ci_u32_e64 v9, null, 0, v9, s2
	v_cmp_le_u32_e32 vcc_lo, s20, v16
	v_cndmask_b32_e64 v15, 0, -1, vcc_lo
	s_delay_alu instid0(VALU_DEP_3)
	v_cmp_le_u32_e32 vcc_lo, s21, v9
	v_cndmask_b32_e64 v16, 0, -1, vcc_lo
	v_cmp_le_u32_e32 vcc_lo, s20, v14
	v_cndmask_b32_e64 v19, 0, -1, vcc_lo
	;; [unrolled: 2-line block ×3, first 2 shown]
	v_cmp_eq_u32_e32 vcc_lo, s21, v9
	v_cndmask_b32_e32 v9, v16, v15, vcc_lo
	v_cmp_eq_u32_e32 vcc_lo, s21, v18
	v_add_nc_u64_e32 v[14:15], 2, v[12:13]
	v_add_nc_u64_e32 v[16:17], 1, v[12:13]
	v_cndmask_b32_e32 v18, v20, v19, vcc_lo
	v_cmp_ne_u32_e32 vcc_lo, 0, v9
	s_delay_alu instid0(VALU_DEP_2) | instskip(NEXT) | instid1(VALU_DEP_4)
	v_cmp_ne_u32_e64 s2, 0, v18
	v_dual_cndmask_b32 v14, v16, v14 :: v_dual_cndmask_b32 v9, v17, v15
	s_delay_alu instid0(VALU_DEP_1) | instskip(SKIP_1) | instid1(VALU_DEP_2)
	v_dual_cndmask_b32 v12, v12, v14, s2 :: v_dual_cndmask_b32 v13, v13, v9, s2
	v_mov_b32_e32 v9, v8
	v_xor_b32_e32 v12, v12, v8
	s_delay_alu instid0(VALU_DEP_3) | instskip(NEXT) | instid1(VALU_DEP_1)
	v_xor_b32_e32 v13, v13, v8
	v_sub_nc_u64_e32 v[12:13], v[12:13], v[8:9]
.LBB23_15:
	s_and_not1_saveexec_b32 s2, s3
	s_cbranch_execz .LBB23_17
; %bb.16:
	v_cvt_f32_u32_e32 v8, s12
	s_sub_co_i32 s3, 0, s12
	s_delay_alu instid0(VALU_DEP_1) | instskip(SKIP_1) | instid1(TRANS32_DEP_1)
	v_rcp_iflag_f32_e32 v8, v8
	v_nop
	v_mul_f32_e32 v8, 0x4f7ffffe, v8
	s_delay_alu instid0(VALU_DEP_1) | instskip(NEXT) | instid1(VALU_DEP_1)
	v_cvt_u32_f32_e32 v8, v8
	v_mul_lo_u32 v9, s3, v8
	s_delay_alu instid0(VALU_DEP_1) | instskip(NEXT) | instid1(VALU_DEP_1)
	v_mul_hi_u32 v9, v8, v9
	v_add_nc_u32_e32 v8, v8, v9
	s_delay_alu instid0(VALU_DEP_1) | instskip(NEXT) | instid1(VALU_DEP_1)
	v_mul_hi_u32 v8, v4, v8
	v_mul_lo_u32 v9, v8, s12
	s_delay_alu instid0(VALU_DEP_1) | instskip(NEXT) | instid1(VALU_DEP_1)
	v_sub_nc_u32_e32 v9, v4, v9
	v_subrev_nc_u32_e32 v13, s12, v9
	v_cmp_le_u32_e32 vcc_lo, s12, v9
	s_delay_alu instid0(VALU_DEP_2) | instskip(NEXT) | instid1(VALU_DEP_1)
	v_dual_cndmask_b32 v9, v9, v13 :: v_dual_add_nc_u32 v12, 1, v8
	v_dual_cndmask_b32 v8, v8, v12 :: v_dual_mov_b32 v13, 0
	s_delay_alu instid0(VALU_DEP_2) | instskip(NEXT) | instid1(VALU_DEP_2)
	v_cmp_le_u32_e32 vcc_lo, s12, v9
	v_add_nc_u32_e32 v12, 1, v8
	s_delay_alu instid0(VALU_DEP_1)
	v_cndmask_b32_e32 v12, v8, v12, vcc_lo
.LBB23_17:
	s_or_b32 exec_lo, exec_lo, s2
	s_delay_alu instid0(VALU_DEP_1) | instskip(SKIP_2) | instid1(VALU_DEP_2)
	v_mul_u64_e32 v[8:9], s[12:13], v[12:13]
	s_mov_b32 s2, exec_lo
	v_mov_b32_e32 v14, 0
	v_sub_nc_u64_e32 v[8:9], v[4:5], v[8:9]
                                        ; implicit-def: $vgpr4_vgpr5
	s_delay_alu instid0(VALU_DEP_1) | instskip(NEXT) | instid1(VALU_DEP_1)
	v_or_b32_e32 v15, s9, v9
	v_cmpx_ne_u64_e32 0, v[14:15]
	s_xor_b32 s3, exec_lo, s2
	s_cbranch_execz .LBB23_19
; %bb.18:
	s_ashr_i32 s12, s9, 31
	s_mov_b32 s27, 0
	s_mov_b32 s13, s12
	v_dual_mov_b32 v19, v14 :: v_dual_ashrrev_i32 v4, 31, v9
	s_add_nc_u64 s[14:15], s[8:9], s[12:13]
	v_mov_b32_e32 v21, v14
	s_xor_b64 s[14:15], s[14:15], s[12:13]
	s_delay_alu instid0(VALU_DEP_2)
	v_mov_b32_e32 v5, v4
	s_cvt_f32_u32 s2, s14
	s_cvt_f32_u32 s13, s15
	s_sub_nc_u64 s[22:23], 0, s[14:15]
	v_mov_b32_e32 v27, v14
	v_add_nc_u64_e32 v[16:17], v[8:9], v[4:5]
	s_fmamk_f32 s2, s13, 0x4f800000, s2
	v_mov_b32_e32 v15, v14
	s_delay_alu instid0(SALU_CYCLE_2) | instskip(NEXT) | instid1(VALU_DEP_2)
	v_s_rcp_f32 s2, s2
	v_xor_b32_e32 v18, v16, v4
	s_delay_alu instid0(VALU_DEP_3) | instskip(SKIP_1) | instid1(TRANS32_DEP_1)
	v_xor_b32_e32 v20, v17, v4
	v_xor_b32_e32 v4, s12, v4
	s_mul_f32 s2, s2, 0x5f7ffffc
	s_delay_alu instid0(SALU_CYCLE_3) | instskip(NEXT) | instid1(SALU_CYCLE_3)
	s_mul_f32 s13, s2, 0x2f800000
	s_trunc_f32 s13, s13
	s_delay_alu instid0(SALU_CYCLE_3) | instskip(SKIP_1) | instid1(SALU_CYCLE_2)
	s_fmamk_f32 s2, s13, 0xcf800000, s2
	s_cvt_u32_f32 s21, s13
	s_cvt_u32_f32 s20, s2
	s_delay_alu instid0(SALU_CYCLE_3) | instskip(NEXT) | instid1(SALU_CYCLE_1)
	s_mul_u64 s[24:25], s[22:23], s[20:21]
	s_mul_hi_u32 s29, s20, s25
	s_mul_i32 s28, s20, s25
	s_mul_hi_u32 s26, s20, s24
	s_mul_i32 s13, s21, s24
	s_add_nc_u64 s[28:29], s[26:27], s[28:29]
	s_mul_hi_u32 s2, s21, s24
	s_mul_hi_u32 s30, s21, s25
	s_add_co_u32 s13, s28, s13
	s_add_co_ci_u32 s26, s29, s2
	s_mul_i32 s24, s21, s25
	s_add_co_ci_u32 s25, s30, 0
	s_delay_alu instid0(SALU_CYCLE_1) | instskip(NEXT) | instid1(SALU_CYCLE_1)
	s_add_nc_u64 s[24:25], s[26:27], s[24:25]
	s_add_co_u32 s20, s20, s24
	s_cselect_b32 s2, -1, 0
	s_delay_alu instid0(SALU_CYCLE_1) | instskip(SKIP_1) | instid1(SALU_CYCLE_1)
	s_cmp_lg_u32 s2, 0
	s_add_co_ci_u32 s21, s21, s25
	s_mul_u64 s[22:23], s[22:23], s[20:21]
	s_delay_alu instid0(SALU_CYCLE_1)
	s_mul_hi_u32 s25, s20, s23
	s_mul_i32 s24, s20, s23
	s_mul_hi_u32 s26, s20, s22
	s_mul_i32 s13, s21, s22
	s_add_nc_u64 s[24:25], s[26:27], s[24:25]
	s_mul_hi_u32 s2, s21, s22
	s_mul_hi_u32 s28, s21, s23
	s_add_co_u32 s13, s24, s13
	s_add_co_ci_u32 s26, s25, s2
	s_mul_i32 s22, s21, s23
	s_add_co_ci_u32 s23, s28, 0
	s_delay_alu instid0(SALU_CYCLE_1) | instskip(NEXT) | instid1(SALU_CYCLE_1)
	s_add_nc_u64 s[22:23], s[26:27], s[22:23]
	s_add_co_u32 s2, s20, s22
	s_cselect_b32 s13, -1, 0
	v_mul_hi_u32 v26, v18, s2
	s_cmp_lg_u32 s13, 0
	s_add_co_ci_u32 s26, s21, s23
	s_mov_b64 s[20:21], 0xffffffff
	v_mul_u64_e32 v[22:23], s[26:27], v[18:19]
	s_and_b64 s[20:21], s[2:3], s[20:21]
	v_mul_u64_e32 v[24:25], s[26:27], v[20:21]
	v_mul_u64_e32 v[16:17], s[20:21], v[20:21]
	s_delay_alu instid0(VALU_DEP_3) | instskip(NEXT) | instid1(VALU_DEP_1)
	v_add_nc_u64_e32 v[22:23], v[26:27], v[22:23]
	v_add_co_u32 v5, vcc_lo, v22, v16
	s_delay_alu instid0(VALU_DEP_2) | instskip(SKIP_1) | instid1(VALU_DEP_1)
	v_add_co_ci_u32_e32 v14, vcc_lo, v23, v17, vcc_lo
	v_add_co_ci_u32_e32 v25, vcc_lo, 0, v25, vcc_lo
	v_add_nc_u64_e32 v[14:15], v[14:15], v[24:25]
	s_delay_alu instid0(VALU_DEP_1) | instskip(NEXT) | instid1(VALU_DEP_1)
	v_mul_u64_e32 v[16:17], s[14:15], v[14:15]
	v_sub_nc_u32_e32 v5, v20, v17
	s_delay_alu instid0(VALU_DEP_2) | instskip(NEXT) | instid1(VALU_DEP_1)
	v_sub_co_u32 v16, vcc_lo, v18, v16
	v_sub_co_ci_u32_e64 v20, null, v20, v17, vcc_lo
	s_delay_alu instid0(VALU_DEP_3) | instskip(NEXT) | instid1(VALU_DEP_3)
	v_subrev_co_ci_u32_e64 v5, null, s15, v5, vcc_lo
	v_sub_co_u32 v18, s2, v16, s14
	s_delay_alu instid0(VALU_DEP_1) | instskip(NEXT) | instid1(VALU_DEP_2)
	v_subrev_co_ci_u32_e64 v5, null, 0, v5, s2
	v_cmp_le_u32_e32 vcc_lo, s14, v18
	v_cndmask_b32_e64 v17, 0, -1, vcc_lo
	s_delay_alu instid0(VALU_DEP_3)
	v_cmp_le_u32_e32 vcc_lo, s15, v5
	v_cndmask_b32_e64 v18, 0, -1, vcc_lo
	v_cmp_le_u32_e32 vcc_lo, s14, v16
	v_cndmask_b32_e64 v21, 0, -1, vcc_lo
	;; [unrolled: 2-line block ×3, first 2 shown]
	v_cmp_eq_u32_e32 vcc_lo, s15, v5
	v_cndmask_b32_e32 v5, v18, v17, vcc_lo
	v_cmp_eq_u32_e32 vcc_lo, s15, v20
	v_add_nc_u64_e32 v[16:17], 2, v[14:15]
	v_add_nc_u64_e32 v[18:19], 1, v[14:15]
	v_cndmask_b32_e32 v20, v22, v21, vcc_lo
	v_cmp_ne_u32_e32 vcc_lo, 0, v5
	s_delay_alu instid0(VALU_DEP_2) | instskip(NEXT) | instid1(VALU_DEP_4)
	v_cmp_ne_u32_e64 s2, 0, v20
	v_dual_cndmask_b32 v16, v18, v16 :: v_dual_cndmask_b32 v5, v19, v17
	s_delay_alu instid0(VALU_DEP_1) | instskip(NEXT) | instid1(VALU_DEP_1)
	v_dual_cndmask_b32 v14, v14, v16, s2 :: v_dual_cndmask_b32 v15, v15, v5, s2
	v_dual_mov_b32 v5, v4 :: v_dual_bitop2_b32 v14, v14, v4 bitop3:0x14
	s_delay_alu instid0(VALU_DEP_2) | instskip(NEXT) | instid1(VALU_DEP_1)
	v_xor_b32_e32 v15, v15, v4
	v_sub_nc_u64_e32 v[4:5], v[14:15], v[4:5]
.LBB23_19:
	s_and_not1_saveexec_b32 s2, s3
	s_cbranch_execz .LBB23_21
; %bb.20:
	v_cvt_f32_u32_e32 v4, s8
	s_sub_co_i32 s3, 0, s8
	s_delay_alu instid0(VALU_DEP_1) | instskip(SKIP_1) | instid1(TRANS32_DEP_1)
	v_rcp_iflag_f32_e32 v4, v4
	v_nop
	v_mul_f32_e32 v4, 0x4f7ffffe, v4
	s_delay_alu instid0(VALU_DEP_1) | instskip(NEXT) | instid1(VALU_DEP_1)
	v_cvt_u32_f32_e32 v4, v4
	v_mul_lo_u32 v5, s3, v4
	s_delay_alu instid0(VALU_DEP_1) | instskip(NEXT) | instid1(VALU_DEP_1)
	v_mul_hi_u32 v5, v4, v5
	v_add_nc_u32_e32 v4, v4, v5
	s_delay_alu instid0(VALU_DEP_1) | instskip(NEXT) | instid1(VALU_DEP_1)
	v_mul_hi_u32 v4, v8, v4
	v_mul_lo_u32 v5, v4, s8
	s_delay_alu instid0(VALU_DEP_1) | instskip(NEXT) | instid1(VALU_DEP_1)
	v_dual_add_nc_u32 v14, 1, v4 :: v_dual_sub_nc_u32 v5, v8, v5
	v_subrev_nc_u32_e32 v15, s8, v5
	v_cmp_le_u32_e32 vcc_lo, s8, v5
	s_delay_alu instid0(VALU_DEP_2) | instskip(NEXT) | instid1(VALU_DEP_1)
	v_dual_cndmask_b32 v5, v5, v15 :: v_dual_cndmask_b32 v4, v4, v14
	v_cmp_le_u32_e32 vcc_lo, s8, v5
	s_delay_alu instid0(VALU_DEP_2) | instskip(NEXT) | instid1(VALU_DEP_1)
	v_dual_mov_b32 v5, 0 :: v_dual_add_nc_u32 v14, 1, v4
	v_cndmask_b32_e32 v4, v4, v14, vcc_lo
.LBB23_21:
	s_or_b32 exec_lo, exec_lo, s2
	s_delay_alu instid0(VALU_DEP_1) | instskip(SKIP_1) | instid1(VALU_DEP_1)
	v_mul_u64_e32 v[14:15], s[8:9], v[4:5]
                                        ; implicit-def: $vgpr16_vgpr17
	s_mov_b32 s2, exec_lo
	v_sub_nc_u64_e32 v[8:9], v[8:9], v[14:15]
	s_delay_alu instid0(VALU_DEP_1) | instskip(NEXT) | instid1(VALU_DEP_1)
	v_dual_mov_b32 v14, 0 :: v_dual_bitop2_b32 v15, s41, v9 bitop3:0x54
	v_cmpx_ne_u64_e32 0, v[14:15]
	s_xor_b32 s3, exec_lo, s2
	s_cbranch_execz .LBB23_23
; %bb.22:
	s_ashr_i32 s8, s41, 31
	s_mov_b32 s25, 0
	s_mov_b32 s9, s8
	v_dual_mov_b32 v21, v14 :: v_dual_ashrrev_i32 v16, 31, v9
	s_add_nc_u64 s[12:13], s[40:41], s[8:9]
	v_dual_mov_b32 v29, v14 :: v_dual_mov_b32 v15, v14
	s_xor_b64 s[12:13], s[12:13], s[8:9]
	s_delay_alu instid0(VALU_DEP_2) | instskip(SKIP_3) | instid1(VALU_DEP_1)
	v_mov_b32_e32 v17, v16
	s_cvt_f32_u32 s2, s12
	s_cvt_f32_u32 s9, s13
	s_sub_nc_u64 s[20:21], 0, s[12:13]
	v_add_nc_u64_e32 v[18:19], v[8:9], v[16:17]
	s_delay_alu instid0(SALU_CYCLE_1) | instskip(SKIP_1) | instid1(SALU_CYCLE_2)
	s_fmamk_f32 s2, s9, 0x4f800000, s2
	v_mov_b32_e32 v23, v14
	v_s_rcp_f32 s2, s2
	s_delay_alu instid0(VALU_DEP_2) | instskip(NEXT) | instid1(VALU_DEP_3)
	v_xor_b32_e32 v20, v18, v16
	v_xor_b32_e32 v22, v19, v16
	;; [unrolled: 1-line block ×3, first 2 shown]
	s_delay_alu instid0(TRANS32_DEP_1) | instskip(NEXT) | instid1(SALU_CYCLE_3)
	s_mul_f32 s2, s2, 0x5f7ffffc
	s_mul_f32 s9, s2, 0x2f800000
	s_delay_alu instid0(SALU_CYCLE_3) | instskip(NEXT) | instid1(SALU_CYCLE_3)
	s_trunc_f32 s9, s9
	s_fmamk_f32 s2, s9, 0xcf800000, s2
	s_cvt_u32_f32 s15, s9
	s_delay_alu instid0(SALU_CYCLE_2) | instskip(NEXT) | instid1(SALU_CYCLE_3)
	s_cvt_u32_f32 s14, s2
	s_mul_u64 s[22:23], s[20:21], s[14:15]
	s_delay_alu instid0(SALU_CYCLE_1)
	s_mul_hi_u32 s27, s14, s23
	s_mul_i32 s26, s14, s23
	s_mul_hi_u32 s24, s14, s22
	s_mul_i32 s9, s15, s22
	s_add_nc_u64 s[26:27], s[24:25], s[26:27]
	s_mul_hi_u32 s2, s15, s22
	s_mul_hi_u32 s28, s15, s23
	s_add_co_u32 s9, s26, s9
	s_add_co_ci_u32 s24, s27, s2
	s_mul_i32 s22, s15, s23
	s_add_co_ci_u32 s23, s28, 0
	s_delay_alu instid0(SALU_CYCLE_1) | instskip(NEXT) | instid1(SALU_CYCLE_1)
	s_add_nc_u64 s[22:23], s[24:25], s[22:23]
	s_add_co_u32 s14, s14, s22
	s_cselect_b32 s2, -1, 0
	s_delay_alu instid0(SALU_CYCLE_1) | instskip(SKIP_1) | instid1(SALU_CYCLE_1)
	s_cmp_lg_u32 s2, 0
	s_add_co_ci_u32 s15, s15, s23
	s_mul_u64 s[20:21], s[20:21], s[14:15]
	s_delay_alu instid0(SALU_CYCLE_1)
	s_mul_hi_u32 s23, s14, s21
	s_mul_i32 s22, s14, s21
	s_mul_hi_u32 s24, s14, s20
	s_mul_i32 s9, s15, s20
	s_add_nc_u64 s[22:23], s[24:25], s[22:23]
	s_mul_hi_u32 s2, s15, s20
	s_mul_hi_u32 s26, s15, s21
	s_add_co_u32 s9, s22, s9
	s_add_co_ci_u32 s24, s23, s2
	s_mul_i32 s20, s15, s21
	s_add_co_ci_u32 s21, s26, 0
	s_delay_alu instid0(SALU_CYCLE_1) | instskip(NEXT) | instid1(SALU_CYCLE_1)
	s_add_nc_u64 s[20:21], s[24:25], s[20:21]
	s_add_co_u32 s2, s14, s20
	s_cselect_b32 s9, -1, 0
	v_mul_hi_u32 v28, v20, s2
	s_cmp_lg_u32 s9, 0
	s_add_co_ci_u32 s24, s15, s21
	s_mov_b64 s[14:15], 0xffffffff
	v_mul_u64_e32 v[24:25], s[24:25], v[20:21]
	s_and_b64 s[14:15], s[2:3], s[14:15]
	v_mul_u64_e32 v[26:27], s[24:25], v[22:23]
	v_mul_u64_e32 v[18:19], s[14:15], v[22:23]
	s_delay_alu instid0(VALU_DEP_3) | instskip(NEXT) | instid1(VALU_DEP_1)
	v_add_nc_u64_e32 v[24:25], v[28:29], v[24:25]
	v_add_co_u32 v14, vcc_lo, v24, v18
	s_delay_alu instid0(VALU_DEP_2) | instskip(SKIP_1) | instid1(VALU_DEP_1)
	v_add_co_ci_u32_e32 v14, vcc_lo, v25, v19, vcc_lo
	v_add_co_ci_u32_e32 v27, vcc_lo, 0, v27, vcc_lo
	v_add_nc_u64_e32 v[14:15], v[14:15], v[26:27]
	s_delay_alu instid0(VALU_DEP_1) | instskip(NEXT) | instid1(VALU_DEP_1)
	v_mul_u64_e32 v[18:19], s[12:13], v[14:15]
	v_sub_nc_u32_e32 v17, v22, v19
	s_delay_alu instid0(VALU_DEP_2) | instskip(NEXT) | instid1(VALU_DEP_1)
	v_sub_co_u32 v18, vcc_lo, v20, v18
	v_sub_co_ci_u32_e64 v22, null, v22, v19, vcc_lo
	s_delay_alu instid0(VALU_DEP_3) | instskip(NEXT) | instid1(VALU_DEP_3)
	v_subrev_co_ci_u32_e64 v17, null, s13, v17, vcc_lo
	v_sub_co_u32 v20, s2, v18, s12
	s_delay_alu instid0(VALU_DEP_1) | instskip(NEXT) | instid1(VALU_DEP_2)
	v_subrev_co_ci_u32_e64 v17, null, 0, v17, s2
	v_cmp_le_u32_e32 vcc_lo, s12, v20
	v_cndmask_b32_e64 v19, 0, -1, vcc_lo
	s_delay_alu instid0(VALU_DEP_3)
	v_cmp_le_u32_e32 vcc_lo, s13, v17
	v_cndmask_b32_e64 v20, 0, -1, vcc_lo
	v_cmp_le_u32_e32 vcc_lo, s12, v18
	v_cndmask_b32_e64 v23, 0, -1, vcc_lo
	;; [unrolled: 2-line block ×3, first 2 shown]
	v_cmp_eq_u32_e32 vcc_lo, s13, v17
	v_cndmask_b32_e32 v17, v20, v19, vcc_lo
	v_cmp_eq_u32_e32 vcc_lo, s13, v22
	v_add_nc_u64_e32 v[18:19], 2, v[14:15]
	v_add_nc_u64_e32 v[20:21], 1, v[14:15]
	v_cndmask_b32_e32 v22, v24, v23, vcc_lo
	v_cmp_ne_u32_e32 vcc_lo, 0, v17
	s_delay_alu instid0(VALU_DEP_2) | instskip(NEXT) | instid1(VALU_DEP_4)
	v_cmp_ne_u32_e64 s2, 0, v22
	v_dual_cndmask_b32 v18, v20, v18 :: v_dual_cndmask_b32 v17, v21, v19
	s_delay_alu instid0(VALU_DEP_1) | instskip(NEXT) | instid1(VALU_DEP_1)
	v_dual_cndmask_b32 v14, v14, v18, s2 :: v_dual_cndmask_b32 v15, v15, v17, s2
	v_dual_mov_b32 v17, v16 :: v_dual_bitop2_b32 v14, v14, v16 bitop3:0x14
	s_delay_alu instid0(VALU_DEP_2) | instskip(NEXT) | instid1(VALU_DEP_1)
	v_xor_b32_e32 v15, v15, v16
	v_sub_nc_u64_e32 v[16:17], v[14:15], v[16:17]
.LBB23_23:
	s_and_not1_saveexec_b32 s2, s3
	s_cbranch_execz .LBB23_25
; %bb.24:
	v_cvt_f32_u32_e32 v14, s40
	s_sub_co_i32 s3, 0, s40
	s_delay_alu instid0(VALU_DEP_1) | instskip(SKIP_1) | instid1(TRANS32_DEP_1)
	v_rcp_iflag_f32_e32 v14, v14
	v_nop
	v_mul_f32_e32 v14, 0x4f7ffffe, v14
	s_delay_alu instid0(VALU_DEP_1) | instskip(NEXT) | instid1(VALU_DEP_1)
	v_cvt_u32_f32_e32 v14, v14
	v_mul_lo_u32 v15, s3, v14
	s_delay_alu instid0(VALU_DEP_1) | instskip(NEXT) | instid1(VALU_DEP_1)
	v_mul_hi_u32 v15, v14, v15
	v_add_nc_u32_e32 v14, v14, v15
	s_delay_alu instid0(VALU_DEP_1) | instskip(NEXT) | instid1(VALU_DEP_1)
	v_mul_hi_u32 v14, v8, v14
	v_mul_lo_u32 v15, v14, s40
	s_delay_alu instid0(VALU_DEP_1) | instskip(NEXT) | instid1(VALU_DEP_1)
	v_dual_add_nc_u32 v16, 1, v14 :: v_dual_sub_nc_u32 v15, v8, v15
	v_subrev_nc_u32_e32 v17, s40, v15
	v_cmp_le_u32_e32 vcc_lo, s40, v15
	s_delay_alu instid0(VALU_DEP_2) | instskip(NEXT) | instid1(VALU_DEP_4)
	v_dual_cndmask_b32 v15, v15, v17, vcc_lo :: v_dual_mov_b32 v17, 0
	v_cndmask_b32_e32 v14, v14, v16, vcc_lo
	s_delay_alu instid0(VALU_DEP_2) | instskip(NEXT) | instid1(VALU_DEP_2)
	v_cmp_le_u32_e32 vcc_lo, s40, v15
	v_add_nc_u32_e32 v16, 1, v14
	s_delay_alu instid0(VALU_DEP_1)
	v_cndmask_b32_e32 v16, v14, v16, vcc_lo
.LBB23_25:
	s_or_b32 exec_lo, exec_lo, s2
	v_mul_u64_e32 v[14:15], s[10:11], v[10:11]
	s_load_b64 s[0:1], s[0:1], 0x80
	s_delay_alu instid0(VALU_DEP_1) | instskip(NEXT) | instid1(VALU_DEP_1)
	v_sub_nc_u64_e32 v[6:7], v[6:7], v[14:15]
	v_mad_nc_u64_u32 v[14:15], v6, s16, s[4:5]
	s_delay_alu instid0(VALU_DEP_1) | instskip(NEXT) | instid1(VALU_DEP_1)
	v_mad_u32 v7, v7, s16, v15
	v_mad_u32 v15, v6, s17, v7
	s_delay_alu instid0(VALU_DEP_1) | instskip(NEXT) | instid1(VALU_DEP_1)
	v_mad_nc_u64_u32 v[6:7], v10, s18, v[14:15]
	v_mad_u32 v7, v11, s18, v7
	s_delay_alu instid0(VALU_DEP_1) | instskip(NEXT) | instid1(VALU_DEP_1)
	v_mad_u32 v7, v10, s19, v7
	v_mad_nc_u64_u32 v[6:7], v2, s36, v[6:7]
	s_delay_alu instid0(VALU_DEP_1) | instskip(NEXT) | instid1(VALU_DEP_1)
	v_mad_u32 v3, v3, s36, v7
	v_mad_u32 v7, v2, s37, v3
	s_delay_alu instid0(VALU_DEP_1) | instskip(NEXT) | instid1(VALU_DEP_1)
	v_mad_nc_u64_u32 v[2:3], v0, s38, v[6:7]
	v_mad_u32 v1, v1, s38, v3
	s_delay_alu instid0(VALU_DEP_1) | instskip(SKIP_4) | instid1(VALU_DEP_1)
	v_mad_u32 v3, v0, s39, v1
	v_mul_u64_e32 v[0:1], s[40:41], v[16:17]
	global_load_u16 v6, v[2:3], off
	v_sub_nc_u64_e32 v[0:1], v[8:9], v[0:1]
	s_wait_xcnt 0x0
	v_mad_nc_u64_u32 v[2:3], v0, s46, s[6:7]
	s_delay_alu instid0(VALU_DEP_1) | instskip(NEXT) | instid1(VALU_DEP_1)
	v_mad_u32 v1, v1, s46, v3
	v_mad_u32 v3, v0, s47, v1
	s_delay_alu instid0(VALU_DEP_1) | instskip(NEXT) | instid1(VALU_DEP_1)
	v_mad_nc_u64_u32 v[0:1], v16, s48, v[2:3]
	v_mad_u32 v1, v17, s48, v1
	s_delay_alu instid0(VALU_DEP_1) | instskip(NEXT) | instid1(VALU_DEP_1)
	v_mad_u32 v1, v16, s49, v1
	v_mad_nc_u64_u32 v[0:1], v4, s50, v[0:1]
	s_delay_alu instid0(VALU_DEP_1) | instskip(NEXT) | instid1(VALU_DEP_1)
	v_mad_u32 v1, v5, s50, v1
	v_mad_u32 v1, v4, s51, v1
	s_wait_kmcnt 0x0
	s_delay_alu instid0(VALU_DEP_1) | instskip(NEXT) | instid1(VALU_DEP_1)
	v_mad_nc_u64_u32 v[0:1], v12, s0, v[0:1]
	v_mad_u32 v1, v13, s0, v1
	s_delay_alu instid0(VALU_DEP_1)
	v_mad_u32 v1, v12, s1, v1
	s_wait_loadcnt 0x0
	v_cvt_f32_f16_e32 v2, v6
	global_store_b32 v[0:1], v2, off
.LBB23_26:
	s_endpgm
	.section	.rodata,"a",@progbits
	.p2align	6, 0x0
	.amdhsa_kernel _ZL10cpy_scalarIXadL_ZL12cpy_1_scalarI6__halffEvPKcPcEEEvS3_S4_lllllllllllllll
		.amdhsa_group_segment_fixed_size 0
		.amdhsa_private_segment_fixed_size 0
		.amdhsa_kernarg_size 392
		.amdhsa_user_sgpr_count 2
		.amdhsa_user_sgpr_dispatch_ptr 0
		.amdhsa_user_sgpr_queue_ptr 0
		.amdhsa_user_sgpr_kernarg_segment_ptr 1
		.amdhsa_user_sgpr_dispatch_id 0
		.amdhsa_user_sgpr_kernarg_preload_length 0
		.amdhsa_user_sgpr_kernarg_preload_offset 0
		.amdhsa_user_sgpr_private_segment_size 0
		.amdhsa_wavefront_size32 1
		.amdhsa_uses_dynamic_stack 0
		.amdhsa_enable_private_segment 0
		.amdhsa_system_sgpr_workgroup_id_x 1
		.amdhsa_system_sgpr_workgroup_id_y 0
		.amdhsa_system_sgpr_workgroup_id_z 0
		.amdhsa_system_sgpr_workgroup_info 0
		.amdhsa_system_vgpr_workitem_id 0
		.amdhsa_next_free_vgpr 30
		.amdhsa_next_free_sgpr 52
		.amdhsa_named_barrier_count 0
		.amdhsa_reserve_vcc 1
		.amdhsa_float_round_mode_32 0
		.amdhsa_float_round_mode_16_64 0
		.amdhsa_float_denorm_mode_32 3
		.amdhsa_float_denorm_mode_16_64 3
		.amdhsa_fp16_overflow 0
		.amdhsa_memory_ordered 1
		.amdhsa_forward_progress 1
		.amdhsa_inst_pref_size 40
		.amdhsa_round_robin_scheduling 0
		.amdhsa_exception_fp_ieee_invalid_op 0
		.amdhsa_exception_fp_denorm_src 0
		.amdhsa_exception_fp_ieee_div_zero 0
		.amdhsa_exception_fp_ieee_overflow 0
		.amdhsa_exception_fp_ieee_underflow 0
		.amdhsa_exception_fp_ieee_inexact 0
		.amdhsa_exception_int_div_zero 0
	.end_amdhsa_kernel
	.section	.text._ZL10cpy_scalarIXadL_ZL12cpy_1_scalarI6__halffEvPKcPcEEEvS3_S4_lllllllllllllll,"axG",@progbits,_ZL10cpy_scalarIXadL_ZL12cpy_1_scalarI6__halffEvPKcPcEEEvS3_S4_lllllllllllllll,comdat
.Lfunc_end23:
	.size	_ZL10cpy_scalarIXadL_ZL12cpy_1_scalarI6__halffEvPKcPcEEEvS3_S4_lllllllllllllll, .Lfunc_end23-_ZL10cpy_scalarIXadL_ZL12cpy_1_scalarI6__halffEvPKcPcEEEvS3_S4_lllllllllllllll
                                        ; -- End function
	.set _ZL10cpy_scalarIXadL_ZL12cpy_1_scalarI6__halffEvPKcPcEEEvS3_S4_lllllllllllllll.num_vgpr, 30
	.set _ZL10cpy_scalarIXadL_ZL12cpy_1_scalarI6__halffEvPKcPcEEEvS3_S4_lllllllllllllll.num_agpr, 0
	.set _ZL10cpy_scalarIXadL_ZL12cpy_1_scalarI6__halffEvPKcPcEEEvS3_S4_lllllllllllllll.numbered_sgpr, 52
	.set _ZL10cpy_scalarIXadL_ZL12cpy_1_scalarI6__halffEvPKcPcEEEvS3_S4_lllllllllllllll.num_named_barrier, 0
	.set _ZL10cpy_scalarIXadL_ZL12cpy_1_scalarI6__halffEvPKcPcEEEvS3_S4_lllllllllllllll.private_seg_size, 0
	.set _ZL10cpy_scalarIXadL_ZL12cpy_1_scalarI6__halffEvPKcPcEEEvS3_S4_lllllllllllllll.uses_vcc, 1
	.set _ZL10cpy_scalarIXadL_ZL12cpy_1_scalarI6__halffEvPKcPcEEEvS3_S4_lllllllllllllll.uses_flat_scratch, 0
	.set _ZL10cpy_scalarIXadL_ZL12cpy_1_scalarI6__halffEvPKcPcEEEvS3_S4_lllllllllllllll.has_dyn_sized_stack, 0
	.set _ZL10cpy_scalarIXadL_ZL12cpy_1_scalarI6__halffEvPKcPcEEEvS3_S4_lllllllllllllll.has_recursion, 0
	.set _ZL10cpy_scalarIXadL_ZL12cpy_1_scalarI6__halffEvPKcPcEEEvS3_S4_lllllllllllllll.has_indirect_call, 0
	.section	.AMDGPU.csdata,"",@progbits
; Kernel info:
; codeLenInByte = 5008
; TotalNumSgprs: 54
; NumVgprs: 30
; ScratchSize: 0
; MemoryBound: 0
; FloatMode: 240
; IeeeMode: 1
; LDSByteSize: 0 bytes/workgroup (compile time only)
; SGPRBlocks: 0
; VGPRBlocks: 1
; NumSGPRsForWavesPerEU: 54
; NumVGPRsForWavesPerEU: 30
; NamedBarCnt: 0
; Occupancy: 16
; WaveLimiterHint : 0
; COMPUTE_PGM_RSRC2:SCRATCH_EN: 0
; COMPUTE_PGM_RSRC2:USER_SGPR: 2
; COMPUTE_PGM_RSRC2:TRAP_HANDLER: 0
; COMPUTE_PGM_RSRC2:TGID_X_EN: 1
; COMPUTE_PGM_RSRC2:TGID_Y_EN: 0
; COMPUTE_PGM_RSRC2:TGID_Z_EN: 0
; COMPUTE_PGM_RSRC2:TIDIG_COMP_CNT: 0
	.section	.text._ZL10cpy_scalarIXadL_ZL12cpy_1_scalarI14__hip_bfloat16S1_EvPKcPcEEEvS3_S4_lllllllllllllll,"axG",@progbits,_ZL10cpy_scalarIXadL_ZL12cpy_1_scalarI14__hip_bfloat16S1_EvPKcPcEEEvS3_S4_lllllllllllllll,comdat
	.globl	_ZL10cpy_scalarIXadL_ZL12cpy_1_scalarI14__hip_bfloat16S1_EvPKcPcEEEvS3_S4_lllllllllllllll ; -- Begin function _ZL10cpy_scalarIXadL_ZL12cpy_1_scalarI14__hip_bfloat16S1_EvPKcPcEEEvS3_S4_lllllllllllllll
	.p2align	8
	.type	_ZL10cpy_scalarIXadL_ZL12cpy_1_scalarI14__hip_bfloat16S1_EvPKcPcEEEvS3_S4_lllllllllllllll,@function
_ZL10cpy_scalarIXadL_ZL12cpy_1_scalarI14__hip_bfloat16S1_EvPKcPcEEEvS3_S4_lllllllllllllll: ; @_ZL10cpy_scalarIXadL_ZL12cpy_1_scalarI14__hip_bfloat16S1_EvPKcPcEEEvS3_S4_lllllllllllllll
; %bb.0:
	s_load_b32 s2, s[0:1], 0x94
	s_bfe_u32 s4, ttmp6, 0x4000c
	v_mov_b32_e32 v2, 0
	s_add_co_i32 s21, s4, 1
	s_load_b512 s[4:19], s[0:1], 0x0
	s_and_b32 s3, ttmp6, 15
	s_mul_i32 s21, ttmp9, s21
	s_getreg_b32 s20, hwreg(HW_REG_IB_STS2, 6, 4)
	v_mov_b32_e32 v1, v2
	s_add_co_i32 s3, s3, s21
	s_wait_kmcnt 0x0
	s_and_b32 s2, s2, 0xffff
	s_cmp_eq_u32 s20, 0
	s_cselect_b32 s3, ttmp9, s3
	s_delay_alu instid0(SALU_CYCLE_1) | instskip(SKIP_1) | instid1(VALU_DEP_1)
	v_mad_nc_u64_u32 v[4:5], s2, s3, v[0:1]
	s_mov_b32 s2, exec_lo
	v_cmpx_gt_i64_e64 s[8:9], v[4:5]
	s_cbranch_execz .LBB24_26
; %bb.1:
	s_mul_u64 s[8:9], s[12:13], s[10:11]
                                        ; implicit-def: $vgpr0_vgpr1
	s_mov_b32 s2, exec_lo
	s_mul_u64 s[12:13], s[8:9], s[14:15]
	s_delay_alu instid0(SALU_CYCLE_1) | instskip(NEXT) | instid1(VALU_DEP_1)
	v_dual_ashrrev_i32 v8, 31, v5 :: v_dual_bitop2_b32 v3, s13, v5 bitop3:0x54
	v_cmpx_ne_u64_e32 0, v[2:3]
	s_xor_b32 s3, exec_lo, s2
	s_cbranch_execz .LBB24_3
; %bb.2:
	s_ashr_i32 s14, s13, 31
	s_mov_b32 s29, 0
	s_mov_b32 s15, s14
	v_dual_mov_b32 v9, v8 :: v_dual_mov_b32 v3, 0
	s_add_nc_u64 s[20:21], s[12:13], s[14:15]
	s_delay_alu instid0(SALU_CYCLE_1) | instskip(NEXT) | instid1(VALU_DEP_1)
	s_xor_b64 s[20:21], s[20:21], s[14:15]
	v_add_nc_u64_e32 v[0:1], v[4:5], v[8:9]
	s_cvt_f32_u32 s2, s20
	s_cvt_f32_u32 s15, s21
	s_sub_nc_u64 s[24:25], 0, s[20:21]
	v_dual_mov_b32 v7, v3 :: v_dual_mov_b32 v15, v3
	s_delay_alu instid0(SALU_CYCLE_1) | instskip(NEXT) | instid1(VALU_DEP_2)
	s_fmamk_f32 s2, s15, 0x4f800000, s2
	v_xor_b32_e32 v2, v0, v8
	v_xor_b32_e32 v6, v1, v8
	s_delay_alu instid0(SALU_CYCLE_1) | instskip(NEXT) | instid1(TRANS32_DEP_1)
	v_s_rcp_f32 s2, s2
	s_mul_f32 s2, s2, 0x5f7ffffc
	s_delay_alu instid0(SALU_CYCLE_3) | instskip(NEXT) | instid1(SALU_CYCLE_3)
	s_mul_f32 s15, s2, 0x2f800000
	s_trunc_f32 s15, s15
	s_delay_alu instid0(SALU_CYCLE_3) | instskip(SKIP_1) | instid1(SALU_CYCLE_2)
	s_fmamk_f32 s2, s15, 0xcf800000, s2
	s_cvt_u32_f32 s23, s15
	s_cvt_u32_f32 s22, s2
	s_delay_alu instid0(SALU_CYCLE_3) | instskip(NEXT) | instid1(SALU_CYCLE_1)
	s_mul_u64 s[26:27], s[24:25], s[22:23]
	s_mul_hi_u32 s31, s22, s27
	s_mul_i32 s30, s22, s27
	s_mul_hi_u32 s28, s22, s26
	s_mul_i32 s15, s23, s26
	s_add_nc_u64 s[30:31], s[28:29], s[30:31]
	s_mul_hi_u32 s2, s23, s26
	s_mul_hi_u32 s33, s23, s27
	s_add_co_u32 s15, s30, s15
	s_add_co_ci_u32 s28, s31, s2
	s_mul_i32 s26, s23, s27
	s_add_co_ci_u32 s27, s33, 0
	s_delay_alu instid0(SALU_CYCLE_1) | instskip(NEXT) | instid1(SALU_CYCLE_1)
	s_add_nc_u64 s[26:27], s[28:29], s[26:27]
	s_add_co_u32 s22, s22, s26
	s_cselect_b32 s2, -1, 0
	s_delay_alu instid0(SALU_CYCLE_1) | instskip(SKIP_1) | instid1(SALU_CYCLE_1)
	s_cmp_lg_u32 s2, 0
	s_add_co_ci_u32 s23, s23, s27
	s_mul_u64 s[24:25], s[24:25], s[22:23]
	s_delay_alu instid0(SALU_CYCLE_1)
	s_mul_hi_u32 s27, s22, s25
	s_mul_i32 s26, s22, s25
	s_mul_hi_u32 s28, s22, s24
	s_mul_i32 s15, s23, s24
	s_add_nc_u64 s[26:27], s[28:29], s[26:27]
	s_mul_hi_u32 s2, s23, s24
	s_mul_hi_u32 s30, s23, s25
	s_add_co_u32 s15, s26, s15
	s_add_co_ci_u32 s28, s27, s2
	s_mul_i32 s24, s23, s25
	s_add_co_ci_u32 s25, s30, 0
	s_delay_alu instid0(SALU_CYCLE_1) | instskip(NEXT) | instid1(SALU_CYCLE_1)
	s_add_nc_u64 s[24:25], s[28:29], s[24:25]
	s_add_co_u32 s2, s22, s24
	s_cselect_b32 s15, -1, 0
	v_nop
	v_mul_hi_u32 v14, v2, s2
	s_cmp_lg_u32 s15, 0
	s_add_co_ci_u32 s28, s23, s25
	s_mov_b64 s[22:23], 0xffffffff
	v_mul_u64_e32 v[10:11], s[28:29], v[2:3]
	s_and_b64 s[22:23], s[2:3], s[22:23]
	v_mul_u64_e32 v[12:13], s[28:29], v[6:7]
	v_mul_u64_e32 v[0:1], s[22:23], v[6:7]
	s_delay_alu instid0(VALU_DEP_3) | instskip(NEXT) | instid1(VALU_DEP_1)
	v_add_nc_u64_e32 v[10:11], v[14:15], v[10:11]
	v_add_co_u32 v0, vcc_lo, v10, v0
	s_delay_alu instid0(VALU_DEP_2) | instskip(SKIP_1) | instid1(VALU_DEP_1)
	v_add_co_ci_u32_e32 v14, vcc_lo, v11, v1, vcc_lo
	v_add_co_ci_u32_e32 v13, vcc_lo, 0, v13, vcc_lo
	v_add_nc_u64_e32 v[0:1], v[14:15], v[12:13]
	s_delay_alu instid0(VALU_DEP_1) | instskip(NEXT) | instid1(VALU_DEP_1)
	v_mul_u64_e32 v[10:11], s[20:21], v[0:1]
	v_sub_nc_u32_e32 v3, v6, v11
	s_delay_alu instid0(VALU_DEP_2) | instskip(NEXT) | instid1(VALU_DEP_1)
	v_sub_co_u32 v2, vcc_lo, v2, v10
	v_sub_co_ci_u32_e64 v9, null, v6, v11, vcc_lo
	s_delay_alu instid0(VALU_DEP_3) | instskip(NEXT) | instid1(VALU_DEP_3)
	v_subrev_co_ci_u32_e64 v3, null, s21, v3, vcc_lo
	v_sub_co_u32 v7, s2, v2, s20
	s_delay_alu instid0(VALU_DEP_1) | instskip(NEXT) | instid1(VALU_DEP_2)
	v_subrev_co_ci_u32_e64 v3, null, 0, v3, s2
	v_cmp_le_u32_e32 vcc_lo, s20, v7
	v_cndmask_b32_e64 v6, 0, -1, vcc_lo
	s_delay_alu instid0(VALU_DEP_3)
	v_cmp_le_u32_e32 vcc_lo, s21, v3
	v_cndmask_b32_e64 v7, 0, -1, vcc_lo
	v_cmp_le_u32_e32 vcc_lo, s20, v2
	v_cndmask_b32_e64 v10, 0, -1, vcc_lo
	;; [unrolled: 2-line block ×3, first 2 shown]
	v_cmp_eq_u32_e32 vcc_lo, s21, v3
	v_add_nc_u64_e32 v[2:3], 2, v[0:1]
	v_cndmask_b32_e32 v12, v7, v6, vcc_lo
	v_cmp_eq_u32_e32 vcc_lo, s21, v9
	v_add_nc_u64_e32 v[6:7], 1, v[0:1]
	v_cndmask_b32_e32 v9, v11, v10, vcc_lo
	s_delay_alu instid0(VALU_DEP_4) | instskip(NEXT) | instid1(VALU_DEP_3)
	v_cmp_ne_u32_e32 vcc_lo, 0, v12
	v_dual_cndmask_b32 v3, v7, v3 :: v_dual_cndmask_b32 v6, v6, v2
	v_xor_b32_e32 v2, s14, v8
	s_delay_alu instid0(VALU_DEP_4) | instskip(NEXT) | instid1(VALU_DEP_1)
	v_cmp_ne_u32_e64 s2, 0, v9
	v_dual_cndmask_b32 v1, v1, v3, s2 :: v_dual_cndmask_b32 v0, v0, v6, s2
	s_delay_alu instid0(VALU_DEP_1) | instskip(NEXT) | instid1(VALU_DEP_2)
	v_dual_mov_b32 v3, v2 :: v_dual_bitop2_b32 v1, v1, v2 bitop3:0x14
	v_xor_b32_e32 v0, v0, v2
	s_delay_alu instid0(VALU_DEP_1)
	v_sub_nc_u64_e32 v[0:1], v[0:1], v[2:3]
.LBB24_3:
	s_and_not1_saveexec_b32 s2, s3
	s_cbranch_execz .LBB24_5
; %bb.4:
	v_cvt_f32_u32_e32 v0, s12
	s_sub_co_i32 s3, 0, s12
	s_delay_alu instid0(VALU_DEP_1) | instskip(SKIP_1) | instid1(TRANS32_DEP_1)
	v_rcp_iflag_f32_e32 v0, v0
	v_nop
	v_mul_f32_e32 v0, 0x4f7ffffe, v0
	s_delay_alu instid0(VALU_DEP_1) | instskip(NEXT) | instid1(VALU_DEP_1)
	v_cvt_u32_f32_e32 v0, v0
	v_mul_lo_u32 v1, s3, v0
	s_delay_alu instid0(VALU_DEP_1) | instskip(NEXT) | instid1(VALU_DEP_1)
	v_mul_hi_u32 v1, v0, v1
	v_add_nc_u32_e32 v0, v0, v1
	s_delay_alu instid0(VALU_DEP_1) | instskip(NEXT) | instid1(VALU_DEP_1)
	v_mul_hi_u32 v0, v4, v0
	v_mul_lo_u32 v1, v0, s12
	s_delay_alu instid0(VALU_DEP_1) | instskip(NEXT) | instid1(VALU_DEP_1)
	v_dual_add_nc_u32 v2, 1, v0 :: v_dual_sub_nc_u32 v1, v4, v1
	v_subrev_nc_u32_e32 v3, s12, v1
	v_cmp_le_u32_e32 vcc_lo, s12, v1
	s_delay_alu instid0(VALU_DEP_2) | instskip(NEXT) | instid1(VALU_DEP_1)
	v_dual_cndmask_b32 v1, v1, v3 :: v_dual_cndmask_b32 v0, v0, v2
	v_cmp_le_u32_e32 vcc_lo, s12, v1
	s_delay_alu instid0(VALU_DEP_2) | instskip(NEXT) | instid1(VALU_DEP_1)
	v_dual_mov_b32 v1, 0 :: v_dual_add_nc_u32 v2, 1, v0
	v_cndmask_b32_e32 v0, v0, v2, vcc_lo
.LBB24_5:
	s_or_b32 exec_lo, exec_lo, s2
	s_delay_alu instid0(VALU_DEP_1) | instskip(SKIP_2) | instid1(VALU_DEP_2)
	v_mul_u64_e32 v[2:3], s[12:13], v[0:1]
	s_mov_b32 s2, exec_lo
	v_mov_b32_e32 v10, 0
	v_sub_nc_u64_e32 v[6:7], v[4:5], v[2:3]
                                        ; implicit-def: $vgpr2_vgpr3
	s_delay_alu instid0(VALU_DEP_1) | instskip(NEXT) | instid1(VALU_DEP_1)
	v_or_b32_e32 v11, s9, v7
	v_cmpx_ne_u64_e32 0, v[10:11]
	s_xor_b32 s3, exec_lo, s2
	s_cbranch_execz .LBB24_7
; %bb.6:
	s_ashr_i32 s12, s9, 31
	s_mov_b32 s27, 0
	s_mov_b32 s13, s12
	v_dual_mov_b32 v15, v10 :: v_dual_ashrrev_i32 v2, 31, v7
	s_add_nc_u64 s[14:15], s[8:9], s[12:13]
	v_dual_mov_b32 v23, v10 :: v_dual_mov_b32 v11, v10
	s_xor_b64 s[14:15], s[14:15], s[12:13]
	s_delay_alu instid0(VALU_DEP_2) | instskip(SKIP_3) | instid1(VALU_DEP_1)
	v_mov_b32_e32 v3, v2
	s_cvt_f32_u32 s2, s14
	s_cvt_f32_u32 s13, s15
	s_sub_nc_u64 s[22:23], 0, s[14:15]
	v_add_nc_u64_e32 v[12:13], v[6:7], v[2:3]
	s_delay_alu instid0(SALU_CYCLE_1) | instskip(SKIP_1) | instid1(SALU_CYCLE_2)
	s_fmamk_f32 s2, s13, 0x4f800000, s2
	v_mov_b32_e32 v17, v10
	v_s_rcp_f32 s2, s2
	s_delay_alu instid0(VALU_DEP_2) | instskip(NEXT) | instid1(VALU_DEP_3)
	v_xor_b32_e32 v14, v12, v2
	v_xor_b32_e32 v16, v13, v2
	;; [unrolled: 1-line block ×3, first 2 shown]
	s_delay_alu instid0(TRANS32_DEP_1) | instskip(NEXT) | instid1(SALU_CYCLE_3)
	s_mul_f32 s2, s2, 0x5f7ffffc
	s_mul_f32 s13, s2, 0x2f800000
	s_delay_alu instid0(SALU_CYCLE_3) | instskip(NEXT) | instid1(SALU_CYCLE_3)
	s_trunc_f32 s13, s13
	s_fmamk_f32 s2, s13, 0xcf800000, s2
	s_cvt_u32_f32 s21, s13
	s_delay_alu instid0(SALU_CYCLE_2) | instskip(NEXT) | instid1(SALU_CYCLE_3)
	s_cvt_u32_f32 s20, s2
	s_mul_u64 s[24:25], s[22:23], s[20:21]
	s_delay_alu instid0(SALU_CYCLE_1)
	s_mul_hi_u32 s29, s20, s25
	s_mul_i32 s28, s20, s25
	s_mul_hi_u32 s26, s20, s24
	s_mul_i32 s13, s21, s24
	s_add_nc_u64 s[28:29], s[26:27], s[28:29]
	s_mul_hi_u32 s2, s21, s24
	s_mul_hi_u32 s30, s21, s25
	s_add_co_u32 s13, s28, s13
	s_add_co_ci_u32 s26, s29, s2
	s_mul_i32 s24, s21, s25
	s_add_co_ci_u32 s25, s30, 0
	s_delay_alu instid0(SALU_CYCLE_1) | instskip(NEXT) | instid1(SALU_CYCLE_1)
	s_add_nc_u64 s[24:25], s[26:27], s[24:25]
	s_add_co_u32 s20, s20, s24
	s_cselect_b32 s2, -1, 0
	s_delay_alu instid0(SALU_CYCLE_1) | instskip(SKIP_1) | instid1(SALU_CYCLE_1)
	s_cmp_lg_u32 s2, 0
	s_add_co_ci_u32 s21, s21, s25
	s_mul_u64 s[22:23], s[22:23], s[20:21]
	s_delay_alu instid0(SALU_CYCLE_1)
	s_mul_hi_u32 s25, s20, s23
	s_mul_i32 s24, s20, s23
	s_mul_hi_u32 s26, s20, s22
	s_mul_i32 s13, s21, s22
	s_add_nc_u64 s[24:25], s[26:27], s[24:25]
	s_mul_hi_u32 s2, s21, s22
	s_mul_hi_u32 s28, s21, s23
	s_add_co_u32 s13, s24, s13
	s_add_co_ci_u32 s26, s25, s2
	s_mul_i32 s22, s21, s23
	s_add_co_ci_u32 s23, s28, 0
	s_delay_alu instid0(SALU_CYCLE_1) | instskip(NEXT) | instid1(SALU_CYCLE_1)
	s_add_nc_u64 s[22:23], s[26:27], s[22:23]
	s_add_co_u32 s2, s20, s22
	s_cselect_b32 s13, -1, 0
	v_mul_hi_u32 v22, v14, s2
	s_cmp_lg_u32 s13, 0
	s_add_co_ci_u32 s26, s21, s23
	s_mov_b64 s[20:21], 0xffffffff
	v_mul_u64_e32 v[18:19], s[26:27], v[14:15]
	s_and_b64 s[20:21], s[2:3], s[20:21]
	v_mul_u64_e32 v[20:21], s[26:27], v[16:17]
	v_mul_u64_e32 v[12:13], s[20:21], v[16:17]
	s_delay_alu instid0(VALU_DEP_3) | instskip(NEXT) | instid1(VALU_DEP_1)
	v_add_nc_u64_e32 v[18:19], v[22:23], v[18:19]
	v_add_co_u32 v3, vcc_lo, v18, v12
	s_delay_alu instid0(VALU_DEP_2) | instskip(SKIP_1) | instid1(VALU_DEP_1)
	v_add_co_ci_u32_e32 v10, vcc_lo, v19, v13, vcc_lo
	v_add_co_ci_u32_e32 v21, vcc_lo, 0, v21, vcc_lo
	v_add_nc_u64_e32 v[10:11], v[10:11], v[20:21]
	s_delay_alu instid0(VALU_DEP_1) | instskip(NEXT) | instid1(VALU_DEP_1)
	v_mul_u64_e32 v[12:13], s[14:15], v[10:11]
	v_sub_co_u32 v9, vcc_lo, v14, v12
	v_add_nc_u64_e32 v[14:15], 1, v[10:11]
	s_delay_alu instid0(VALU_DEP_3) | instskip(SKIP_1) | instid1(VALU_DEP_4)
	v_sub_nc_u32_e32 v3, v16, v13
	v_sub_co_ci_u32_e64 v16, null, v16, v13, vcc_lo
	v_sub_co_u32 v12, s2, v9, s14
	s_delay_alu instid0(VALU_DEP_3) | instskip(NEXT) | instid1(VALU_DEP_2)
	v_subrev_co_ci_u32_e64 v3, null, s15, v3, vcc_lo
	v_cmp_le_u32_e32 vcc_lo, s14, v12
	s_delay_alu instid0(VALU_DEP_2) | instskip(SKIP_1) | instid1(VALU_DEP_2)
	v_subrev_co_ci_u32_e64 v3, null, 0, v3, s2
	v_cndmask_b32_e64 v12, 0, -1, vcc_lo
	v_cmp_le_u32_e32 vcc_lo, s15, v3
	v_cndmask_b32_e64 v13, 0, -1, vcc_lo
	v_cmp_le_u32_e32 vcc_lo, s14, v9
	v_cndmask_b32_e64 v9, 0, -1, vcc_lo
	v_cmp_le_u32_e32 vcc_lo, s15, v16
	v_cndmask_b32_e64 v17, 0, -1, vcc_lo
	v_cmp_eq_u32_e32 vcc_lo, s15, v3
	v_cndmask_b32_e32 v3, v13, v12, vcc_lo
	v_cmp_eq_u32_e32 vcc_lo, s15, v16
	v_add_nc_u64_e32 v[12:13], 2, v[10:11]
	v_cndmask_b32_e32 v9, v17, v9, vcc_lo
	s_delay_alu instid0(VALU_DEP_4) | instskip(NEXT) | instid1(VALU_DEP_2)
	v_cmp_ne_u32_e32 vcc_lo, 0, v3
	v_cmp_ne_u32_e64 s2, 0, v9
	s_delay_alu instid0(VALU_DEP_4) | instskip(NEXT) | instid1(VALU_DEP_1)
	v_cndmask_b32_e32 v9, v14, v12, vcc_lo
	v_cndmask_b32_e64 v9, v10, v9, s2
	s_delay_alu instid0(VALU_DEP_1) | instskip(NEXT) | instid1(VALU_DEP_1)
	v_dual_cndmask_b32 v3, v15, v13, vcc_lo :: v_dual_bitop2_b32 v10, v9, v2 bitop3:0x14
	v_dual_cndmask_b32 v11, v11, v3, s2 :: v_dual_mov_b32 v3, v2
	s_delay_alu instid0(VALU_DEP_1) | instskip(NEXT) | instid1(VALU_DEP_1)
	v_xor_b32_e32 v11, v11, v2
	v_sub_nc_u64_e32 v[2:3], v[10:11], v[2:3]
.LBB24_7:
	s_and_not1_saveexec_b32 s2, s3
	s_cbranch_execz .LBB24_9
; %bb.8:
	v_cvt_f32_u32_e32 v2, s8
	s_sub_co_i32 s3, 0, s8
	s_delay_alu instid0(VALU_DEP_1) | instskip(SKIP_1) | instid1(TRANS32_DEP_1)
	v_rcp_iflag_f32_e32 v2, v2
	v_nop
	v_mul_f32_e32 v2, 0x4f7ffffe, v2
	s_delay_alu instid0(VALU_DEP_1) | instskip(NEXT) | instid1(VALU_DEP_1)
	v_cvt_u32_f32_e32 v2, v2
	v_mul_lo_u32 v3, s3, v2
	s_delay_alu instid0(VALU_DEP_1) | instskip(NEXT) | instid1(VALU_DEP_1)
	v_mul_hi_u32 v3, v2, v3
	v_add_nc_u32_e32 v2, v2, v3
	s_delay_alu instid0(VALU_DEP_1) | instskip(NEXT) | instid1(VALU_DEP_1)
	v_mul_hi_u32 v2, v6, v2
	v_mul_lo_u32 v3, v2, s8
	s_delay_alu instid0(VALU_DEP_1) | instskip(NEXT) | instid1(VALU_DEP_1)
	v_dual_add_nc_u32 v9, 1, v2 :: v_dual_sub_nc_u32 v3, v6, v3
	v_subrev_nc_u32_e32 v10, s8, v3
	v_cmp_le_u32_e32 vcc_lo, s8, v3
	s_delay_alu instid0(VALU_DEP_2) | instskip(NEXT) | instid1(VALU_DEP_1)
	v_dual_cndmask_b32 v3, v3, v10 :: v_dual_cndmask_b32 v2, v2, v9
	v_cmp_le_u32_e32 vcc_lo, s8, v3
	s_delay_alu instid0(VALU_DEP_2) | instskip(NEXT) | instid1(VALU_DEP_1)
	v_dual_add_nc_u32 v9, 1, v2 :: v_dual_mov_b32 v3, 0
	v_cndmask_b32_e32 v2, v2, v9, vcc_lo
.LBB24_9:
	s_or_b32 exec_lo, exec_lo, s2
	s_delay_alu instid0(VALU_DEP_1) | instskip(SKIP_2) | instid1(VALU_DEP_2)
	v_mul_u64_e32 v[10:11], s[8:9], v[2:3]
	s_mov_b32 s2, exec_lo
	v_mov_b32_e32 v12, 0
	v_sub_nc_u64_e32 v[6:7], v[6:7], v[10:11]
                                        ; implicit-def: $vgpr10_vgpr11
	s_delay_alu instid0(VALU_DEP_1) | instskip(NEXT) | instid1(VALU_DEP_1)
	v_or_b32_e32 v13, s11, v7
	v_cmpx_ne_u64_e32 0, v[12:13]
	s_xor_b32 s3, exec_lo, s2
	s_cbranch_execz .LBB24_11
; %bb.10:
	s_ashr_i32 s8, s11, 31
	s_mov_b32 s25, 0
	s_mov_b32 s9, s8
	v_dual_mov_b32 v17, v12 :: v_dual_ashrrev_i32 v10, 31, v7
	s_add_nc_u64 s[12:13], s[10:11], s[8:9]
	v_mov_b32_e32 v19, v12
	s_xor_b64 s[12:13], s[12:13], s[8:9]
	s_delay_alu instid0(VALU_DEP_2)
	v_mov_b32_e32 v11, v10
	s_cvt_f32_u32 s2, s12
	s_cvt_f32_u32 s9, s13
	s_sub_nc_u64 s[20:21], 0, s[12:13]
	v_mov_b32_e32 v25, v12
	v_add_nc_u64_e32 v[14:15], v[6:7], v[10:11]
	s_fmamk_f32 s2, s9, 0x4f800000, s2
	v_mov_b32_e32 v13, v12
	s_delay_alu instid0(SALU_CYCLE_2) | instskip(NEXT) | instid1(VALU_DEP_2)
	v_s_rcp_f32 s2, s2
	v_xor_b32_e32 v16, v14, v10
	s_delay_alu instid0(VALU_DEP_3) | instskip(SKIP_1) | instid1(TRANS32_DEP_1)
	v_xor_b32_e32 v18, v15, v10
	v_xor_b32_e32 v10, s8, v10
	s_mul_f32 s2, s2, 0x5f7ffffc
	s_delay_alu instid0(SALU_CYCLE_3) | instskip(NEXT) | instid1(SALU_CYCLE_3)
	s_mul_f32 s9, s2, 0x2f800000
	s_trunc_f32 s9, s9
	s_delay_alu instid0(SALU_CYCLE_3) | instskip(SKIP_1) | instid1(SALU_CYCLE_2)
	s_fmamk_f32 s2, s9, 0xcf800000, s2
	s_cvt_u32_f32 s15, s9
	s_cvt_u32_f32 s14, s2
	s_delay_alu instid0(SALU_CYCLE_3) | instskip(NEXT) | instid1(SALU_CYCLE_1)
	s_mul_u64 s[22:23], s[20:21], s[14:15]
	s_mul_hi_u32 s27, s14, s23
	s_mul_i32 s26, s14, s23
	s_mul_hi_u32 s24, s14, s22
	s_mul_i32 s9, s15, s22
	s_add_nc_u64 s[26:27], s[24:25], s[26:27]
	s_mul_hi_u32 s2, s15, s22
	s_mul_hi_u32 s28, s15, s23
	s_add_co_u32 s9, s26, s9
	s_add_co_ci_u32 s24, s27, s2
	s_mul_i32 s22, s15, s23
	s_add_co_ci_u32 s23, s28, 0
	s_delay_alu instid0(SALU_CYCLE_1) | instskip(NEXT) | instid1(SALU_CYCLE_1)
	s_add_nc_u64 s[22:23], s[24:25], s[22:23]
	s_add_co_u32 s14, s14, s22
	s_cselect_b32 s2, -1, 0
	s_delay_alu instid0(SALU_CYCLE_1) | instskip(SKIP_1) | instid1(SALU_CYCLE_1)
	s_cmp_lg_u32 s2, 0
	s_add_co_ci_u32 s15, s15, s23
	s_mul_u64 s[20:21], s[20:21], s[14:15]
	s_delay_alu instid0(SALU_CYCLE_1)
	s_mul_hi_u32 s23, s14, s21
	s_mul_i32 s22, s14, s21
	s_mul_hi_u32 s24, s14, s20
	s_mul_i32 s9, s15, s20
	s_add_nc_u64 s[22:23], s[24:25], s[22:23]
	s_mul_hi_u32 s2, s15, s20
	s_mul_hi_u32 s26, s15, s21
	s_add_co_u32 s9, s22, s9
	s_add_co_ci_u32 s24, s23, s2
	s_mul_i32 s20, s15, s21
	s_add_co_ci_u32 s21, s26, 0
	s_delay_alu instid0(SALU_CYCLE_1) | instskip(NEXT) | instid1(SALU_CYCLE_1)
	s_add_nc_u64 s[20:21], s[24:25], s[20:21]
	s_add_co_u32 s2, s14, s20
	s_cselect_b32 s9, -1, 0
	v_mul_hi_u32 v24, v16, s2
	s_cmp_lg_u32 s9, 0
	s_add_co_ci_u32 s24, s15, s21
	s_mov_b64 s[14:15], 0xffffffff
	v_mul_u64_e32 v[20:21], s[24:25], v[16:17]
	s_and_b64 s[14:15], s[2:3], s[14:15]
	v_mul_u64_e32 v[22:23], s[24:25], v[18:19]
	v_mul_u64_e32 v[14:15], s[14:15], v[18:19]
	s_delay_alu instid0(VALU_DEP_3) | instskip(NEXT) | instid1(VALU_DEP_1)
	v_add_nc_u64_e32 v[20:21], v[24:25], v[20:21]
	v_add_co_u32 v9, vcc_lo, v20, v14
	s_delay_alu instid0(VALU_DEP_2) | instskip(SKIP_1) | instid1(VALU_DEP_1)
	v_add_co_ci_u32_e32 v12, vcc_lo, v21, v15, vcc_lo
	v_add_co_ci_u32_e32 v23, vcc_lo, 0, v23, vcc_lo
	v_add_nc_u64_e32 v[12:13], v[12:13], v[22:23]
	s_delay_alu instid0(VALU_DEP_1) | instskip(NEXT) | instid1(VALU_DEP_1)
	v_mul_u64_e32 v[14:15], s[12:13], v[12:13]
	v_sub_co_u32 v11, vcc_lo, v16, v14
	v_add_nc_u64_e32 v[16:17], 1, v[12:13]
	s_delay_alu instid0(VALU_DEP_3) | instskip(SKIP_1) | instid1(VALU_DEP_4)
	v_sub_nc_u32_e32 v9, v18, v15
	v_sub_co_ci_u32_e64 v18, null, v18, v15, vcc_lo
	v_sub_co_u32 v14, s2, v11, s12
	s_delay_alu instid0(VALU_DEP_3) | instskip(NEXT) | instid1(VALU_DEP_2)
	v_subrev_co_ci_u32_e64 v9, null, s13, v9, vcc_lo
	v_cmp_le_u32_e32 vcc_lo, s12, v14
	s_delay_alu instid0(VALU_DEP_2) | instskip(SKIP_1) | instid1(VALU_DEP_2)
	v_subrev_co_ci_u32_e64 v9, null, 0, v9, s2
	v_cndmask_b32_e64 v14, 0, -1, vcc_lo
	v_cmp_le_u32_e32 vcc_lo, s13, v9
	v_cndmask_b32_e64 v15, 0, -1, vcc_lo
	v_cmp_le_u32_e32 vcc_lo, s12, v11
	;; [unrolled: 2-line block ×3, first 2 shown]
	v_cndmask_b32_e64 v19, 0, -1, vcc_lo
	v_cmp_eq_u32_e32 vcc_lo, s13, v9
	v_cndmask_b32_e32 v9, v15, v14, vcc_lo
	v_cmp_eq_u32_e32 vcc_lo, s13, v18
	v_add_nc_u64_e32 v[14:15], 2, v[12:13]
	v_cndmask_b32_e32 v11, v19, v11, vcc_lo
	s_delay_alu instid0(VALU_DEP_4) | instskip(NEXT) | instid1(VALU_DEP_2)
	v_cmp_ne_u32_e32 vcc_lo, 0, v9
	v_cmp_ne_u32_e64 s2, 0, v11
	s_delay_alu instid0(VALU_DEP_4) | instskip(NEXT) | instid1(VALU_DEP_1)
	v_dual_cndmask_b32 v9, v17, v15, vcc_lo :: v_dual_cndmask_b32 v11, v16, v14, vcc_lo
	v_dual_cndmask_b32 v12, v12, v11, s2 :: v_dual_mov_b32 v11, v10
	s_delay_alu instid0(VALU_DEP_1) | instskip(NEXT) | instid1(VALU_DEP_1)
	v_dual_cndmask_b32 v9, v13, v9, s2 :: v_dual_bitop2_b32 v12, v12, v10 bitop3:0x14
	v_xor_b32_e32 v13, v9, v10
	s_delay_alu instid0(VALU_DEP_1)
	v_sub_nc_u64_e32 v[10:11], v[12:13], v[10:11]
.LBB24_11:
	s_and_not1_saveexec_b32 s2, s3
	s_cbranch_execz .LBB24_13
; %bb.12:
	v_cvt_f32_u32_e32 v9, s10
	s_sub_co_i32 s3, 0, s10
	s_delay_alu instid0(VALU_DEP_1) | instskip(SKIP_1) | instid1(TRANS32_DEP_1)
	v_rcp_iflag_f32_e32 v9, v9
	v_nop
	v_mul_f32_e32 v9, 0x4f7ffffe, v9
	s_delay_alu instid0(VALU_DEP_1) | instskip(NEXT) | instid1(VALU_DEP_1)
	v_cvt_u32_f32_e32 v9, v9
	v_mul_lo_u32 v10, s3, v9
	s_delay_alu instid0(VALU_DEP_1) | instskip(NEXT) | instid1(VALU_DEP_1)
	v_mul_hi_u32 v10, v9, v10
	v_add_nc_u32_e32 v9, v9, v10
	s_delay_alu instid0(VALU_DEP_1) | instskip(NEXT) | instid1(VALU_DEP_1)
	v_mul_hi_u32 v9, v6, v9
	v_mul_lo_u32 v10, v9, s10
	s_delay_alu instid0(VALU_DEP_1) | instskip(NEXT) | instid1(VALU_DEP_1)
	v_dual_add_nc_u32 v11, 1, v9 :: v_dual_sub_nc_u32 v10, v6, v10
	v_subrev_nc_u32_e32 v12, s10, v10
	v_cmp_le_u32_e32 vcc_lo, s10, v10
	s_delay_alu instid0(VALU_DEP_2) | instskip(NEXT) | instid1(VALU_DEP_1)
	v_dual_cndmask_b32 v10, v10, v12 :: v_dual_cndmask_b32 v9, v9, v11
	v_cmp_le_u32_e32 vcc_lo, s10, v10
	s_delay_alu instid0(VALU_DEP_2) | instskip(NEXT) | instid1(VALU_DEP_1)
	v_add_nc_u32_e32 v11, 1, v9
	v_dual_cndmask_b32 v10, v9, v11 :: v_dual_mov_b32 v11, 0
.LBB24_13:
	s_or_b32 exec_lo, exec_lo, s2
	s_load_b512 s[36:51], s[0:1], 0x40
                                        ; implicit-def: $vgpr12_vgpr13
	s_mov_b32 s2, exec_lo
	v_mov_b32_e32 v14, 0
	s_wait_kmcnt 0x0
	s_mul_u64 s[8:9], s[42:43], s[40:41]
	s_delay_alu instid0(SALU_CYCLE_1) | instskip(NEXT) | instid1(SALU_CYCLE_1)
	s_mul_u64 s[12:13], s[8:9], s[44:45]
	v_or_b32_e32 v15, s13, v5
	s_delay_alu instid0(VALU_DEP_1)
	v_cmpx_ne_u64_e32 0, v[14:15]
	s_xor_b32 s3, exec_lo, s2
	s_cbranch_execz .LBB24_15
; %bb.14:
	s_ashr_i32 s14, s13, 31
	s_mov_b32 s29, 0
	s_mov_b32 s15, s14
	v_dual_mov_b32 v9, v8 :: v_dual_mov_b32 v17, v14
	s_add_nc_u64 s[20:21], s[12:13], s[14:15]
	v_mov_b32_e32 v15, v14
	s_xor_b64 s[20:21], s[20:21], s[14:15]
	s_delay_alu instid0(VALU_DEP_2) | instskip(SKIP_4) | instid1(SALU_CYCLE_1)
	v_add_nc_u64_e32 v[12:13], v[4:5], v[8:9]
	s_cvt_f32_u32 s2, s20
	s_cvt_f32_u32 s15, s21
	s_sub_nc_u64 s[24:25], 0, s[20:21]
	v_dual_mov_b32 v19, v14 :: v_dual_mov_b32 v25, v14
	s_fmamk_f32 s2, s15, 0x4f800000, s2
	s_delay_alu instid0(VALU_DEP_2) | instskip(SKIP_3) | instid1(TRANS32_DEP_1)
	v_xor_b32_e32 v16, v12, v8
	v_xor_b32_e32 v18, v13, v8
	;; [unrolled: 1-line block ×3, first 2 shown]
	v_s_rcp_f32 s2, s2
	s_mul_f32 s2, s2, 0x5f7ffffc
	s_delay_alu instid0(SALU_CYCLE_3) | instskip(NEXT) | instid1(SALU_CYCLE_3)
	s_mul_f32 s15, s2, 0x2f800000
	s_trunc_f32 s15, s15
	s_delay_alu instid0(SALU_CYCLE_3) | instskip(SKIP_1) | instid1(SALU_CYCLE_2)
	s_fmamk_f32 s2, s15, 0xcf800000, s2
	s_cvt_u32_f32 s23, s15
	s_cvt_u32_f32 s22, s2
	s_delay_alu instid0(SALU_CYCLE_3) | instskip(NEXT) | instid1(SALU_CYCLE_1)
	s_mul_u64 s[26:27], s[24:25], s[22:23]
	s_mul_hi_u32 s31, s22, s27
	s_mul_i32 s30, s22, s27
	s_mul_hi_u32 s28, s22, s26
	s_mul_i32 s15, s23, s26
	s_add_nc_u64 s[30:31], s[28:29], s[30:31]
	s_mul_hi_u32 s2, s23, s26
	s_mul_hi_u32 s33, s23, s27
	s_add_co_u32 s15, s30, s15
	s_add_co_ci_u32 s28, s31, s2
	s_mul_i32 s26, s23, s27
	s_add_co_ci_u32 s27, s33, 0
	s_delay_alu instid0(SALU_CYCLE_1) | instskip(NEXT) | instid1(SALU_CYCLE_1)
	s_add_nc_u64 s[26:27], s[28:29], s[26:27]
	s_add_co_u32 s22, s22, s26
	s_cselect_b32 s2, -1, 0
	s_delay_alu instid0(SALU_CYCLE_1) | instskip(SKIP_1) | instid1(SALU_CYCLE_1)
	s_cmp_lg_u32 s2, 0
	s_add_co_ci_u32 s23, s23, s27
	s_mul_u64 s[24:25], s[24:25], s[22:23]
	s_delay_alu instid0(SALU_CYCLE_1)
	s_mul_hi_u32 s27, s22, s25
	s_mul_i32 s26, s22, s25
	s_mul_hi_u32 s28, s22, s24
	s_mul_i32 s15, s23, s24
	s_add_nc_u64 s[26:27], s[28:29], s[26:27]
	s_mul_hi_u32 s2, s23, s24
	s_mul_hi_u32 s30, s23, s25
	s_add_co_u32 s15, s26, s15
	s_add_co_ci_u32 s28, s27, s2
	s_mul_i32 s24, s23, s25
	s_add_co_ci_u32 s25, s30, 0
	s_delay_alu instid0(SALU_CYCLE_1) | instskip(NEXT) | instid1(SALU_CYCLE_1)
	s_add_nc_u64 s[24:25], s[28:29], s[24:25]
	s_add_co_u32 s2, s22, s24
	s_cselect_b32 s15, -1, 0
	v_nop
	v_mul_hi_u32 v24, v16, s2
	s_cmp_lg_u32 s15, 0
	s_add_co_ci_u32 s28, s23, s25
	s_mov_b64 s[22:23], 0xffffffff
	v_mul_u64_e32 v[20:21], s[28:29], v[16:17]
	s_and_b64 s[22:23], s[2:3], s[22:23]
	v_mul_u64_e32 v[22:23], s[28:29], v[18:19]
	v_mul_u64_e32 v[12:13], s[22:23], v[18:19]
	s_delay_alu instid0(VALU_DEP_3) | instskip(NEXT) | instid1(VALU_DEP_1)
	v_add_nc_u64_e32 v[20:21], v[24:25], v[20:21]
	v_add_co_u32 v9, vcc_lo, v20, v12
	s_delay_alu instid0(VALU_DEP_2) | instskip(SKIP_1) | instid1(VALU_DEP_1)
	v_add_co_ci_u32_e32 v14, vcc_lo, v21, v13, vcc_lo
	v_add_co_ci_u32_e32 v23, vcc_lo, 0, v23, vcc_lo
	v_add_nc_u64_e32 v[12:13], v[14:15], v[22:23]
	s_delay_alu instid0(VALU_DEP_1) | instskip(NEXT) | instid1(VALU_DEP_1)
	v_mul_u64_e32 v[14:15], s[20:21], v[12:13]
	v_sub_nc_u32_e32 v9, v18, v15
	s_delay_alu instid0(VALU_DEP_2) | instskip(NEXT) | instid1(VALU_DEP_1)
	v_sub_co_u32 v14, vcc_lo, v16, v14
	v_sub_co_ci_u32_e64 v18, null, v18, v15, vcc_lo
	s_delay_alu instid0(VALU_DEP_3) | instskip(NEXT) | instid1(VALU_DEP_3)
	v_subrev_co_ci_u32_e64 v9, null, s21, v9, vcc_lo
	v_sub_co_u32 v16, s2, v14, s20
	s_delay_alu instid0(VALU_DEP_1) | instskip(NEXT) | instid1(VALU_DEP_2)
	v_subrev_co_ci_u32_e64 v9, null, 0, v9, s2
	v_cmp_le_u32_e32 vcc_lo, s20, v16
	v_cndmask_b32_e64 v15, 0, -1, vcc_lo
	s_delay_alu instid0(VALU_DEP_3)
	v_cmp_le_u32_e32 vcc_lo, s21, v9
	v_cndmask_b32_e64 v16, 0, -1, vcc_lo
	v_cmp_le_u32_e32 vcc_lo, s20, v14
	v_cndmask_b32_e64 v19, 0, -1, vcc_lo
	;; [unrolled: 2-line block ×3, first 2 shown]
	v_cmp_eq_u32_e32 vcc_lo, s21, v9
	v_cndmask_b32_e32 v9, v16, v15, vcc_lo
	v_cmp_eq_u32_e32 vcc_lo, s21, v18
	v_add_nc_u64_e32 v[14:15], 2, v[12:13]
	v_add_nc_u64_e32 v[16:17], 1, v[12:13]
	v_cndmask_b32_e32 v18, v20, v19, vcc_lo
	v_cmp_ne_u32_e32 vcc_lo, 0, v9
	s_delay_alu instid0(VALU_DEP_2) | instskip(NEXT) | instid1(VALU_DEP_4)
	v_cmp_ne_u32_e64 s2, 0, v18
	v_dual_cndmask_b32 v14, v16, v14 :: v_dual_cndmask_b32 v9, v17, v15
	s_delay_alu instid0(VALU_DEP_1) | instskip(SKIP_1) | instid1(VALU_DEP_2)
	v_dual_cndmask_b32 v12, v12, v14, s2 :: v_dual_cndmask_b32 v13, v13, v9, s2
	v_mov_b32_e32 v9, v8
	v_xor_b32_e32 v12, v12, v8
	s_delay_alu instid0(VALU_DEP_3) | instskip(NEXT) | instid1(VALU_DEP_1)
	v_xor_b32_e32 v13, v13, v8
	v_sub_nc_u64_e32 v[12:13], v[12:13], v[8:9]
.LBB24_15:
	s_and_not1_saveexec_b32 s2, s3
	s_cbranch_execz .LBB24_17
; %bb.16:
	v_cvt_f32_u32_e32 v8, s12
	s_sub_co_i32 s3, 0, s12
	s_delay_alu instid0(VALU_DEP_1) | instskip(SKIP_1) | instid1(TRANS32_DEP_1)
	v_rcp_iflag_f32_e32 v8, v8
	v_nop
	v_mul_f32_e32 v8, 0x4f7ffffe, v8
	s_delay_alu instid0(VALU_DEP_1) | instskip(NEXT) | instid1(VALU_DEP_1)
	v_cvt_u32_f32_e32 v8, v8
	v_mul_lo_u32 v9, s3, v8
	s_delay_alu instid0(VALU_DEP_1) | instskip(NEXT) | instid1(VALU_DEP_1)
	v_mul_hi_u32 v9, v8, v9
	v_add_nc_u32_e32 v8, v8, v9
	s_delay_alu instid0(VALU_DEP_1) | instskip(NEXT) | instid1(VALU_DEP_1)
	v_mul_hi_u32 v8, v4, v8
	v_mul_lo_u32 v9, v8, s12
	s_delay_alu instid0(VALU_DEP_1) | instskip(NEXT) | instid1(VALU_DEP_1)
	v_sub_nc_u32_e32 v9, v4, v9
	v_subrev_nc_u32_e32 v13, s12, v9
	v_cmp_le_u32_e32 vcc_lo, s12, v9
	s_delay_alu instid0(VALU_DEP_2) | instskip(NEXT) | instid1(VALU_DEP_1)
	v_dual_cndmask_b32 v9, v9, v13 :: v_dual_add_nc_u32 v12, 1, v8
	v_dual_cndmask_b32 v8, v8, v12 :: v_dual_mov_b32 v13, 0
	s_delay_alu instid0(VALU_DEP_2) | instskip(NEXT) | instid1(VALU_DEP_2)
	v_cmp_le_u32_e32 vcc_lo, s12, v9
	v_add_nc_u32_e32 v12, 1, v8
	s_delay_alu instid0(VALU_DEP_1)
	v_cndmask_b32_e32 v12, v8, v12, vcc_lo
.LBB24_17:
	s_or_b32 exec_lo, exec_lo, s2
	s_delay_alu instid0(VALU_DEP_1) | instskip(SKIP_2) | instid1(VALU_DEP_2)
	v_mul_u64_e32 v[8:9], s[12:13], v[12:13]
	s_mov_b32 s2, exec_lo
	v_mov_b32_e32 v14, 0
	v_sub_nc_u64_e32 v[8:9], v[4:5], v[8:9]
                                        ; implicit-def: $vgpr4_vgpr5
	s_delay_alu instid0(VALU_DEP_1) | instskip(NEXT) | instid1(VALU_DEP_1)
	v_or_b32_e32 v15, s9, v9
	v_cmpx_ne_u64_e32 0, v[14:15]
	s_xor_b32 s3, exec_lo, s2
	s_cbranch_execz .LBB24_19
; %bb.18:
	s_ashr_i32 s12, s9, 31
	s_mov_b32 s27, 0
	s_mov_b32 s13, s12
	v_dual_mov_b32 v19, v14 :: v_dual_ashrrev_i32 v4, 31, v9
	s_add_nc_u64 s[14:15], s[8:9], s[12:13]
	v_mov_b32_e32 v21, v14
	s_xor_b64 s[14:15], s[14:15], s[12:13]
	s_delay_alu instid0(VALU_DEP_2)
	v_mov_b32_e32 v5, v4
	s_cvt_f32_u32 s2, s14
	s_cvt_f32_u32 s13, s15
	s_sub_nc_u64 s[22:23], 0, s[14:15]
	v_mov_b32_e32 v27, v14
	v_add_nc_u64_e32 v[16:17], v[8:9], v[4:5]
	s_fmamk_f32 s2, s13, 0x4f800000, s2
	v_mov_b32_e32 v15, v14
	s_delay_alu instid0(SALU_CYCLE_2) | instskip(NEXT) | instid1(VALU_DEP_2)
	v_s_rcp_f32 s2, s2
	v_xor_b32_e32 v18, v16, v4
	s_delay_alu instid0(VALU_DEP_3) | instskip(SKIP_1) | instid1(TRANS32_DEP_1)
	v_xor_b32_e32 v20, v17, v4
	v_xor_b32_e32 v4, s12, v4
	s_mul_f32 s2, s2, 0x5f7ffffc
	s_delay_alu instid0(SALU_CYCLE_3) | instskip(NEXT) | instid1(SALU_CYCLE_3)
	s_mul_f32 s13, s2, 0x2f800000
	s_trunc_f32 s13, s13
	s_delay_alu instid0(SALU_CYCLE_3) | instskip(SKIP_1) | instid1(SALU_CYCLE_2)
	s_fmamk_f32 s2, s13, 0xcf800000, s2
	s_cvt_u32_f32 s21, s13
	s_cvt_u32_f32 s20, s2
	s_delay_alu instid0(SALU_CYCLE_3) | instskip(NEXT) | instid1(SALU_CYCLE_1)
	s_mul_u64 s[24:25], s[22:23], s[20:21]
	s_mul_hi_u32 s29, s20, s25
	s_mul_i32 s28, s20, s25
	s_mul_hi_u32 s26, s20, s24
	s_mul_i32 s13, s21, s24
	s_add_nc_u64 s[28:29], s[26:27], s[28:29]
	s_mul_hi_u32 s2, s21, s24
	s_mul_hi_u32 s30, s21, s25
	s_add_co_u32 s13, s28, s13
	s_add_co_ci_u32 s26, s29, s2
	s_mul_i32 s24, s21, s25
	s_add_co_ci_u32 s25, s30, 0
	s_delay_alu instid0(SALU_CYCLE_1) | instskip(NEXT) | instid1(SALU_CYCLE_1)
	s_add_nc_u64 s[24:25], s[26:27], s[24:25]
	s_add_co_u32 s20, s20, s24
	s_cselect_b32 s2, -1, 0
	s_delay_alu instid0(SALU_CYCLE_1) | instskip(SKIP_1) | instid1(SALU_CYCLE_1)
	s_cmp_lg_u32 s2, 0
	s_add_co_ci_u32 s21, s21, s25
	s_mul_u64 s[22:23], s[22:23], s[20:21]
	s_delay_alu instid0(SALU_CYCLE_1)
	s_mul_hi_u32 s25, s20, s23
	s_mul_i32 s24, s20, s23
	s_mul_hi_u32 s26, s20, s22
	s_mul_i32 s13, s21, s22
	s_add_nc_u64 s[24:25], s[26:27], s[24:25]
	s_mul_hi_u32 s2, s21, s22
	s_mul_hi_u32 s28, s21, s23
	s_add_co_u32 s13, s24, s13
	s_add_co_ci_u32 s26, s25, s2
	s_mul_i32 s22, s21, s23
	s_add_co_ci_u32 s23, s28, 0
	s_delay_alu instid0(SALU_CYCLE_1) | instskip(NEXT) | instid1(SALU_CYCLE_1)
	s_add_nc_u64 s[22:23], s[26:27], s[22:23]
	s_add_co_u32 s2, s20, s22
	s_cselect_b32 s13, -1, 0
	v_mul_hi_u32 v26, v18, s2
	s_cmp_lg_u32 s13, 0
	s_add_co_ci_u32 s26, s21, s23
	s_mov_b64 s[20:21], 0xffffffff
	v_mul_u64_e32 v[22:23], s[26:27], v[18:19]
	s_and_b64 s[20:21], s[2:3], s[20:21]
	v_mul_u64_e32 v[24:25], s[26:27], v[20:21]
	v_mul_u64_e32 v[16:17], s[20:21], v[20:21]
	s_delay_alu instid0(VALU_DEP_3) | instskip(NEXT) | instid1(VALU_DEP_1)
	v_add_nc_u64_e32 v[22:23], v[26:27], v[22:23]
	v_add_co_u32 v5, vcc_lo, v22, v16
	s_delay_alu instid0(VALU_DEP_2) | instskip(SKIP_1) | instid1(VALU_DEP_1)
	v_add_co_ci_u32_e32 v14, vcc_lo, v23, v17, vcc_lo
	v_add_co_ci_u32_e32 v25, vcc_lo, 0, v25, vcc_lo
	v_add_nc_u64_e32 v[14:15], v[14:15], v[24:25]
	s_delay_alu instid0(VALU_DEP_1) | instskip(NEXT) | instid1(VALU_DEP_1)
	v_mul_u64_e32 v[16:17], s[14:15], v[14:15]
	v_sub_nc_u32_e32 v5, v20, v17
	s_delay_alu instid0(VALU_DEP_2) | instskip(NEXT) | instid1(VALU_DEP_1)
	v_sub_co_u32 v16, vcc_lo, v18, v16
	v_sub_co_ci_u32_e64 v20, null, v20, v17, vcc_lo
	s_delay_alu instid0(VALU_DEP_3) | instskip(NEXT) | instid1(VALU_DEP_3)
	v_subrev_co_ci_u32_e64 v5, null, s15, v5, vcc_lo
	v_sub_co_u32 v18, s2, v16, s14
	s_delay_alu instid0(VALU_DEP_1) | instskip(NEXT) | instid1(VALU_DEP_2)
	v_subrev_co_ci_u32_e64 v5, null, 0, v5, s2
	v_cmp_le_u32_e32 vcc_lo, s14, v18
	v_cndmask_b32_e64 v17, 0, -1, vcc_lo
	s_delay_alu instid0(VALU_DEP_3)
	v_cmp_le_u32_e32 vcc_lo, s15, v5
	v_cndmask_b32_e64 v18, 0, -1, vcc_lo
	v_cmp_le_u32_e32 vcc_lo, s14, v16
	v_cndmask_b32_e64 v21, 0, -1, vcc_lo
	;; [unrolled: 2-line block ×3, first 2 shown]
	v_cmp_eq_u32_e32 vcc_lo, s15, v5
	v_cndmask_b32_e32 v5, v18, v17, vcc_lo
	v_cmp_eq_u32_e32 vcc_lo, s15, v20
	v_add_nc_u64_e32 v[16:17], 2, v[14:15]
	v_add_nc_u64_e32 v[18:19], 1, v[14:15]
	v_cndmask_b32_e32 v20, v22, v21, vcc_lo
	v_cmp_ne_u32_e32 vcc_lo, 0, v5
	s_delay_alu instid0(VALU_DEP_2) | instskip(NEXT) | instid1(VALU_DEP_4)
	v_cmp_ne_u32_e64 s2, 0, v20
	v_dual_cndmask_b32 v16, v18, v16 :: v_dual_cndmask_b32 v5, v19, v17
	s_delay_alu instid0(VALU_DEP_1) | instskip(NEXT) | instid1(VALU_DEP_1)
	v_dual_cndmask_b32 v14, v14, v16, s2 :: v_dual_cndmask_b32 v15, v15, v5, s2
	v_dual_mov_b32 v5, v4 :: v_dual_bitop2_b32 v14, v14, v4 bitop3:0x14
	s_delay_alu instid0(VALU_DEP_2) | instskip(NEXT) | instid1(VALU_DEP_1)
	v_xor_b32_e32 v15, v15, v4
	v_sub_nc_u64_e32 v[4:5], v[14:15], v[4:5]
.LBB24_19:
	s_and_not1_saveexec_b32 s2, s3
	s_cbranch_execz .LBB24_21
; %bb.20:
	v_cvt_f32_u32_e32 v4, s8
	s_sub_co_i32 s3, 0, s8
	s_delay_alu instid0(VALU_DEP_1) | instskip(SKIP_1) | instid1(TRANS32_DEP_1)
	v_rcp_iflag_f32_e32 v4, v4
	v_nop
	v_mul_f32_e32 v4, 0x4f7ffffe, v4
	s_delay_alu instid0(VALU_DEP_1) | instskip(NEXT) | instid1(VALU_DEP_1)
	v_cvt_u32_f32_e32 v4, v4
	v_mul_lo_u32 v5, s3, v4
	s_delay_alu instid0(VALU_DEP_1) | instskip(NEXT) | instid1(VALU_DEP_1)
	v_mul_hi_u32 v5, v4, v5
	v_add_nc_u32_e32 v4, v4, v5
	s_delay_alu instid0(VALU_DEP_1) | instskip(NEXT) | instid1(VALU_DEP_1)
	v_mul_hi_u32 v4, v8, v4
	v_mul_lo_u32 v5, v4, s8
	s_delay_alu instid0(VALU_DEP_1) | instskip(NEXT) | instid1(VALU_DEP_1)
	v_dual_add_nc_u32 v14, 1, v4 :: v_dual_sub_nc_u32 v5, v8, v5
	v_subrev_nc_u32_e32 v15, s8, v5
	v_cmp_le_u32_e32 vcc_lo, s8, v5
	s_delay_alu instid0(VALU_DEP_2) | instskip(NEXT) | instid1(VALU_DEP_1)
	v_dual_cndmask_b32 v5, v5, v15 :: v_dual_cndmask_b32 v4, v4, v14
	v_cmp_le_u32_e32 vcc_lo, s8, v5
	s_delay_alu instid0(VALU_DEP_2) | instskip(NEXT) | instid1(VALU_DEP_1)
	v_dual_mov_b32 v5, 0 :: v_dual_add_nc_u32 v14, 1, v4
	v_cndmask_b32_e32 v4, v4, v14, vcc_lo
.LBB24_21:
	s_or_b32 exec_lo, exec_lo, s2
	s_delay_alu instid0(VALU_DEP_1) | instskip(SKIP_1) | instid1(VALU_DEP_1)
	v_mul_u64_e32 v[14:15], s[8:9], v[4:5]
                                        ; implicit-def: $vgpr16_vgpr17
	s_mov_b32 s2, exec_lo
	v_sub_nc_u64_e32 v[8:9], v[8:9], v[14:15]
	s_delay_alu instid0(VALU_DEP_1) | instskip(NEXT) | instid1(VALU_DEP_1)
	v_dual_mov_b32 v14, 0 :: v_dual_bitop2_b32 v15, s41, v9 bitop3:0x54
	v_cmpx_ne_u64_e32 0, v[14:15]
	s_xor_b32 s3, exec_lo, s2
	s_cbranch_execz .LBB24_23
; %bb.22:
	s_ashr_i32 s8, s41, 31
	s_mov_b32 s25, 0
	s_mov_b32 s9, s8
	v_dual_mov_b32 v21, v14 :: v_dual_ashrrev_i32 v16, 31, v9
	s_add_nc_u64 s[12:13], s[40:41], s[8:9]
	v_dual_mov_b32 v29, v14 :: v_dual_mov_b32 v15, v14
	s_xor_b64 s[12:13], s[12:13], s[8:9]
	s_delay_alu instid0(VALU_DEP_2) | instskip(SKIP_3) | instid1(VALU_DEP_1)
	v_mov_b32_e32 v17, v16
	s_cvt_f32_u32 s2, s12
	s_cvt_f32_u32 s9, s13
	s_sub_nc_u64 s[20:21], 0, s[12:13]
	v_add_nc_u64_e32 v[18:19], v[8:9], v[16:17]
	s_delay_alu instid0(SALU_CYCLE_1) | instskip(SKIP_1) | instid1(SALU_CYCLE_2)
	s_fmamk_f32 s2, s9, 0x4f800000, s2
	v_mov_b32_e32 v23, v14
	v_s_rcp_f32 s2, s2
	s_delay_alu instid0(VALU_DEP_2) | instskip(NEXT) | instid1(VALU_DEP_3)
	v_xor_b32_e32 v20, v18, v16
	v_xor_b32_e32 v22, v19, v16
	;; [unrolled: 1-line block ×3, first 2 shown]
	s_delay_alu instid0(TRANS32_DEP_1) | instskip(NEXT) | instid1(SALU_CYCLE_3)
	s_mul_f32 s2, s2, 0x5f7ffffc
	s_mul_f32 s9, s2, 0x2f800000
	s_delay_alu instid0(SALU_CYCLE_3) | instskip(NEXT) | instid1(SALU_CYCLE_3)
	s_trunc_f32 s9, s9
	s_fmamk_f32 s2, s9, 0xcf800000, s2
	s_cvt_u32_f32 s15, s9
	s_delay_alu instid0(SALU_CYCLE_2) | instskip(NEXT) | instid1(SALU_CYCLE_3)
	s_cvt_u32_f32 s14, s2
	s_mul_u64 s[22:23], s[20:21], s[14:15]
	s_delay_alu instid0(SALU_CYCLE_1)
	s_mul_hi_u32 s27, s14, s23
	s_mul_i32 s26, s14, s23
	s_mul_hi_u32 s24, s14, s22
	s_mul_i32 s9, s15, s22
	s_add_nc_u64 s[26:27], s[24:25], s[26:27]
	s_mul_hi_u32 s2, s15, s22
	s_mul_hi_u32 s28, s15, s23
	s_add_co_u32 s9, s26, s9
	s_add_co_ci_u32 s24, s27, s2
	s_mul_i32 s22, s15, s23
	s_add_co_ci_u32 s23, s28, 0
	s_delay_alu instid0(SALU_CYCLE_1) | instskip(NEXT) | instid1(SALU_CYCLE_1)
	s_add_nc_u64 s[22:23], s[24:25], s[22:23]
	s_add_co_u32 s14, s14, s22
	s_cselect_b32 s2, -1, 0
	s_delay_alu instid0(SALU_CYCLE_1) | instskip(SKIP_1) | instid1(SALU_CYCLE_1)
	s_cmp_lg_u32 s2, 0
	s_add_co_ci_u32 s15, s15, s23
	s_mul_u64 s[20:21], s[20:21], s[14:15]
	s_delay_alu instid0(SALU_CYCLE_1)
	s_mul_hi_u32 s23, s14, s21
	s_mul_i32 s22, s14, s21
	s_mul_hi_u32 s24, s14, s20
	s_mul_i32 s9, s15, s20
	s_add_nc_u64 s[22:23], s[24:25], s[22:23]
	s_mul_hi_u32 s2, s15, s20
	s_mul_hi_u32 s26, s15, s21
	s_add_co_u32 s9, s22, s9
	s_add_co_ci_u32 s24, s23, s2
	s_mul_i32 s20, s15, s21
	s_add_co_ci_u32 s21, s26, 0
	s_delay_alu instid0(SALU_CYCLE_1) | instskip(NEXT) | instid1(SALU_CYCLE_1)
	s_add_nc_u64 s[20:21], s[24:25], s[20:21]
	s_add_co_u32 s2, s14, s20
	s_cselect_b32 s9, -1, 0
	v_mul_hi_u32 v28, v20, s2
	s_cmp_lg_u32 s9, 0
	s_add_co_ci_u32 s24, s15, s21
	s_mov_b64 s[14:15], 0xffffffff
	v_mul_u64_e32 v[24:25], s[24:25], v[20:21]
	s_and_b64 s[14:15], s[2:3], s[14:15]
	v_mul_u64_e32 v[26:27], s[24:25], v[22:23]
	v_mul_u64_e32 v[18:19], s[14:15], v[22:23]
	s_delay_alu instid0(VALU_DEP_3) | instskip(NEXT) | instid1(VALU_DEP_1)
	v_add_nc_u64_e32 v[24:25], v[28:29], v[24:25]
	v_add_co_u32 v14, vcc_lo, v24, v18
	s_delay_alu instid0(VALU_DEP_2) | instskip(SKIP_1) | instid1(VALU_DEP_1)
	v_add_co_ci_u32_e32 v14, vcc_lo, v25, v19, vcc_lo
	v_add_co_ci_u32_e32 v27, vcc_lo, 0, v27, vcc_lo
	v_add_nc_u64_e32 v[14:15], v[14:15], v[26:27]
	s_delay_alu instid0(VALU_DEP_1) | instskip(NEXT) | instid1(VALU_DEP_1)
	v_mul_u64_e32 v[18:19], s[12:13], v[14:15]
	v_sub_nc_u32_e32 v17, v22, v19
	s_delay_alu instid0(VALU_DEP_2) | instskip(NEXT) | instid1(VALU_DEP_1)
	v_sub_co_u32 v18, vcc_lo, v20, v18
	v_sub_co_ci_u32_e64 v22, null, v22, v19, vcc_lo
	s_delay_alu instid0(VALU_DEP_3) | instskip(NEXT) | instid1(VALU_DEP_3)
	v_subrev_co_ci_u32_e64 v17, null, s13, v17, vcc_lo
	v_sub_co_u32 v20, s2, v18, s12
	s_delay_alu instid0(VALU_DEP_1) | instskip(NEXT) | instid1(VALU_DEP_2)
	v_subrev_co_ci_u32_e64 v17, null, 0, v17, s2
	v_cmp_le_u32_e32 vcc_lo, s12, v20
	v_cndmask_b32_e64 v19, 0, -1, vcc_lo
	s_delay_alu instid0(VALU_DEP_3)
	v_cmp_le_u32_e32 vcc_lo, s13, v17
	v_cndmask_b32_e64 v20, 0, -1, vcc_lo
	v_cmp_le_u32_e32 vcc_lo, s12, v18
	v_cndmask_b32_e64 v23, 0, -1, vcc_lo
	;; [unrolled: 2-line block ×3, first 2 shown]
	v_cmp_eq_u32_e32 vcc_lo, s13, v17
	v_cndmask_b32_e32 v17, v20, v19, vcc_lo
	v_cmp_eq_u32_e32 vcc_lo, s13, v22
	v_add_nc_u64_e32 v[18:19], 2, v[14:15]
	v_add_nc_u64_e32 v[20:21], 1, v[14:15]
	v_cndmask_b32_e32 v22, v24, v23, vcc_lo
	v_cmp_ne_u32_e32 vcc_lo, 0, v17
	s_delay_alu instid0(VALU_DEP_2) | instskip(NEXT) | instid1(VALU_DEP_4)
	v_cmp_ne_u32_e64 s2, 0, v22
	v_dual_cndmask_b32 v18, v20, v18 :: v_dual_cndmask_b32 v17, v21, v19
	s_delay_alu instid0(VALU_DEP_1) | instskip(NEXT) | instid1(VALU_DEP_1)
	v_dual_cndmask_b32 v14, v14, v18, s2 :: v_dual_cndmask_b32 v15, v15, v17, s2
	v_dual_mov_b32 v17, v16 :: v_dual_bitop2_b32 v14, v14, v16 bitop3:0x14
	s_delay_alu instid0(VALU_DEP_2) | instskip(NEXT) | instid1(VALU_DEP_1)
	v_xor_b32_e32 v15, v15, v16
	v_sub_nc_u64_e32 v[16:17], v[14:15], v[16:17]
.LBB24_23:
	s_and_not1_saveexec_b32 s2, s3
	s_cbranch_execz .LBB24_25
; %bb.24:
	v_cvt_f32_u32_e32 v14, s40
	s_sub_co_i32 s3, 0, s40
	s_delay_alu instid0(VALU_DEP_1) | instskip(SKIP_1) | instid1(TRANS32_DEP_1)
	v_rcp_iflag_f32_e32 v14, v14
	v_nop
	v_mul_f32_e32 v14, 0x4f7ffffe, v14
	s_delay_alu instid0(VALU_DEP_1) | instskip(NEXT) | instid1(VALU_DEP_1)
	v_cvt_u32_f32_e32 v14, v14
	v_mul_lo_u32 v15, s3, v14
	s_delay_alu instid0(VALU_DEP_1) | instskip(NEXT) | instid1(VALU_DEP_1)
	v_mul_hi_u32 v15, v14, v15
	v_add_nc_u32_e32 v14, v14, v15
	s_delay_alu instid0(VALU_DEP_1) | instskip(NEXT) | instid1(VALU_DEP_1)
	v_mul_hi_u32 v14, v8, v14
	v_mul_lo_u32 v15, v14, s40
	s_delay_alu instid0(VALU_DEP_1) | instskip(NEXT) | instid1(VALU_DEP_1)
	v_dual_add_nc_u32 v16, 1, v14 :: v_dual_sub_nc_u32 v15, v8, v15
	v_subrev_nc_u32_e32 v17, s40, v15
	v_cmp_le_u32_e32 vcc_lo, s40, v15
	s_delay_alu instid0(VALU_DEP_2) | instskip(NEXT) | instid1(VALU_DEP_4)
	v_dual_cndmask_b32 v15, v15, v17, vcc_lo :: v_dual_mov_b32 v17, 0
	v_cndmask_b32_e32 v14, v14, v16, vcc_lo
	s_delay_alu instid0(VALU_DEP_2) | instskip(NEXT) | instid1(VALU_DEP_2)
	v_cmp_le_u32_e32 vcc_lo, s40, v15
	v_add_nc_u32_e32 v16, 1, v14
	s_delay_alu instid0(VALU_DEP_1)
	v_cndmask_b32_e32 v16, v14, v16, vcc_lo
.LBB24_25:
	s_or_b32 exec_lo, exec_lo, s2
	v_mul_u64_e32 v[14:15], s[10:11], v[10:11]
	s_load_b64 s[0:1], s[0:1], 0x80
	s_delay_alu instid0(VALU_DEP_1) | instskip(NEXT) | instid1(VALU_DEP_1)
	v_sub_nc_u64_e32 v[6:7], v[6:7], v[14:15]
	v_mad_nc_u64_u32 v[14:15], v6, s16, s[4:5]
	s_delay_alu instid0(VALU_DEP_1) | instskip(NEXT) | instid1(VALU_DEP_1)
	v_mad_u32 v7, v7, s16, v15
	v_mad_u32 v15, v6, s17, v7
	s_delay_alu instid0(VALU_DEP_1) | instskip(NEXT) | instid1(VALU_DEP_1)
	v_mad_nc_u64_u32 v[6:7], v10, s18, v[14:15]
	v_mad_u32 v7, v11, s18, v7
	s_delay_alu instid0(VALU_DEP_1) | instskip(NEXT) | instid1(VALU_DEP_1)
	v_mad_u32 v7, v10, s19, v7
	v_mad_nc_u64_u32 v[6:7], v2, s36, v[6:7]
	s_delay_alu instid0(VALU_DEP_1) | instskip(NEXT) | instid1(VALU_DEP_1)
	v_mad_u32 v3, v3, s36, v7
	v_mad_u32 v7, v2, s37, v3
	s_delay_alu instid0(VALU_DEP_1) | instskip(NEXT) | instid1(VALU_DEP_1)
	v_mad_nc_u64_u32 v[2:3], v0, s38, v[6:7]
	v_mad_u32 v1, v1, s38, v3
	s_delay_alu instid0(VALU_DEP_1) | instskip(SKIP_4) | instid1(VALU_DEP_1)
	v_mad_u32 v3, v0, s39, v1
	v_mul_u64_e32 v[0:1], s[40:41], v[16:17]
	global_load_u16 v6, v[2:3], off
	v_sub_nc_u64_e32 v[0:1], v[8:9], v[0:1]
	s_wait_xcnt 0x0
	v_mad_nc_u64_u32 v[2:3], v0, s46, s[6:7]
	s_delay_alu instid0(VALU_DEP_1) | instskip(NEXT) | instid1(VALU_DEP_1)
	v_mad_u32 v1, v1, s46, v3
	v_mad_u32 v3, v0, s47, v1
	s_delay_alu instid0(VALU_DEP_1) | instskip(NEXT) | instid1(VALU_DEP_1)
	v_mad_nc_u64_u32 v[0:1], v16, s48, v[2:3]
	v_mad_u32 v1, v17, s48, v1
	s_delay_alu instid0(VALU_DEP_1) | instskip(NEXT) | instid1(VALU_DEP_1)
	v_mad_u32 v1, v16, s49, v1
	v_mad_nc_u64_u32 v[0:1], v4, s50, v[0:1]
	s_delay_alu instid0(VALU_DEP_1) | instskip(NEXT) | instid1(VALU_DEP_1)
	v_mad_u32 v1, v5, s50, v1
	v_mad_u32 v1, v4, s51, v1
	s_wait_kmcnt 0x0
	s_delay_alu instid0(VALU_DEP_1) | instskip(NEXT) | instid1(VALU_DEP_1)
	v_mad_nc_u64_u32 v[0:1], v12, s0, v[0:1]
	v_mad_u32 v1, v13, s0, v1
	s_delay_alu instid0(VALU_DEP_1)
	v_mad_u32 v1, v12, s1, v1
	s_wait_loadcnt 0x0
	global_store_b16 v[0:1], v6, off
.LBB24_26:
	s_endpgm
	.section	.rodata,"a",@progbits
	.p2align	6, 0x0
	.amdhsa_kernel _ZL10cpy_scalarIXadL_ZL12cpy_1_scalarI14__hip_bfloat16S1_EvPKcPcEEEvS3_S4_lllllllllllllll
		.amdhsa_group_segment_fixed_size 0
		.amdhsa_private_segment_fixed_size 0
		.amdhsa_kernarg_size 392
		.amdhsa_user_sgpr_count 2
		.amdhsa_user_sgpr_dispatch_ptr 0
		.amdhsa_user_sgpr_queue_ptr 0
		.amdhsa_user_sgpr_kernarg_segment_ptr 1
		.amdhsa_user_sgpr_dispatch_id 0
		.amdhsa_user_sgpr_kernarg_preload_length 0
		.amdhsa_user_sgpr_kernarg_preload_offset 0
		.amdhsa_user_sgpr_private_segment_size 0
		.amdhsa_wavefront_size32 1
		.amdhsa_uses_dynamic_stack 0
		.amdhsa_enable_private_segment 0
		.amdhsa_system_sgpr_workgroup_id_x 1
		.amdhsa_system_sgpr_workgroup_id_y 0
		.amdhsa_system_sgpr_workgroup_id_z 0
		.amdhsa_system_sgpr_workgroup_info 0
		.amdhsa_system_vgpr_workitem_id 0
		.amdhsa_next_free_vgpr 30
		.amdhsa_next_free_sgpr 52
		.amdhsa_named_barrier_count 0
		.amdhsa_reserve_vcc 1
		.amdhsa_float_round_mode_32 0
		.amdhsa_float_round_mode_16_64 0
		.amdhsa_float_denorm_mode_32 3
		.amdhsa_float_denorm_mode_16_64 3
		.amdhsa_fp16_overflow 0
		.amdhsa_memory_ordered 1
		.amdhsa_forward_progress 1
		.amdhsa_inst_pref_size 40
		.amdhsa_round_robin_scheduling 0
		.amdhsa_exception_fp_ieee_invalid_op 0
		.amdhsa_exception_fp_denorm_src 0
		.amdhsa_exception_fp_ieee_div_zero 0
		.amdhsa_exception_fp_ieee_overflow 0
		.amdhsa_exception_fp_ieee_underflow 0
		.amdhsa_exception_fp_ieee_inexact 0
		.amdhsa_exception_int_div_zero 0
	.end_amdhsa_kernel
	.section	.text._ZL10cpy_scalarIXadL_ZL12cpy_1_scalarI14__hip_bfloat16S1_EvPKcPcEEEvS3_S4_lllllllllllllll,"axG",@progbits,_ZL10cpy_scalarIXadL_ZL12cpy_1_scalarI14__hip_bfloat16S1_EvPKcPcEEEvS3_S4_lllllllllllllll,comdat
.Lfunc_end24:
	.size	_ZL10cpy_scalarIXadL_ZL12cpy_1_scalarI14__hip_bfloat16S1_EvPKcPcEEEvS3_S4_lllllllllllllll, .Lfunc_end24-_ZL10cpy_scalarIXadL_ZL12cpy_1_scalarI14__hip_bfloat16S1_EvPKcPcEEEvS3_S4_lllllllllllllll
                                        ; -- End function
	.set _ZL10cpy_scalarIXadL_ZL12cpy_1_scalarI14__hip_bfloat16S1_EvPKcPcEEEvS3_S4_lllllllllllllll.num_vgpr, 30
	.set _ZL10cpy_scalarIXadL_ZL12cpy_1_scalarI14__hip_bfloat16S1_EvPKcPcEEEvS3_S4_lllllllllllllll.num_agpr, 0
	.set _ZL10cpy_scalarIXadL_ZL12cpy_1_scalarI14__hip_bfloat16S1_EvPKcPcEEEvS3_S4_lllllllllllllll.numbered_sgpr, 52
	.set _ZL10cpy_scalarIXadL_ZL12cpy_1_scalarI14__hip_bfloat16S1_EvPKcPcEEEvS3_S4_lllllllllllllll.num_named_barrier, 0
	.set _ZL10cpy_scalarIXadL_ZL12cpy_1_scalarI14__hip_bfloat16S1_EvPKcPcEEEvS3_S4_lllllllllllllll.private_seg_size, 0
	.set _ZL10cpy_scalarIXadL_ZL12cpy_1_scalarI14__hip_bfloat16S1_EvPKcPcEEEvS3_S4_lllllllllllllll.uses_vcc, 1
	.set _ZL10cpy_scalarIXadL_ZL12cpy_1_scalarI14__hip_bfloat16S1_EvPKcPcEEEvS3_S4_lllllllllllllll.uses_flat_scratch, 0
	.set _ZL10cpy_scalarIXadL_ZL12cpy_1_scalarI14__hip_bfloat16S1_EvPKcPcEEEvS3_S4_lllllllllllllll.has_dyn_sized_stack, 0
	.set _ZL10cpy_scalarIXadL_ZL12cpy_1_scalarI14__hip_bfloat16S1_EvPKcPcEEEvS3_S4_lllllllllllllll.has_recursion, 0
	.set _ZL10cpy_scalarIXadL_ZL12cpy_1_scalarI14__hip_bfloat16S1_EvPKcPcEEEvS3_S4_lllllllllllllll.has_indirect_call, 0
	.section	.AMDGPU.csdata,"",@progbits
; Kernel info:
; codeLenInByte = 5004
; TotalNumSgprs: 54
; NumVgprs: 30
; ScratchSize: 0
; MemoryBound: 0
; FloatMode: 240
; IeeeMode: 1
; LDSByteSize: 0 bytes/workgroup (compile time only)
; SGPRBlocks: 0
; VGPRBlocks: 1
; NumSGPRsForWavesPerEU: 54
; NumVGPRsForWavesPerEU: 30
; NamedBarCnt: 0
; Occupancy: 16
; WaveLimiterHint : 0
; COMPUTE_PGM_RSRC2:SCRATCH_EN: 0
; COMPUTE_PGM_RSRC2:USER_SGPR: 2
; COMPUTE_PGM_RSRC2:TRAP_HANDLER: 0
; COMPUTE_PGM_RSRC2:TGID_X_EN: 1
; COMPUTE_PGM_RSRC2:TGID_Y_EN: 0
; COMPUTE_PGM_RSRC2:TGID_Z_EN: 0
; COMPUTE_PGM_RSRC2:TIDIG_COMP_CNT: 0
	.section	.text._ZL21cpy_scalar_contiguousI14__hip_bfloat166__halfEvPKcPcl,"axG",@progbits,_ZL21cpy_scalar_contiguousI14__hip_bfloat166__halfEvPKcPcl,comdat
	.globl	_ZL21cpy_scalar_contiguousI14__hip_bfloat166__halfEvPKcPcl ; -- Begin function _ZL21cpy_scalar_contiguousI14__hip_bfloat166__halfEvPKcPcl
	.p2align	8
	.type	_ZL21cpy_scalar_contiguousI14__hip_bfloat166__halfEvPKcPcl,@function
_ZL21cpy_scalar_contiguousI14__hip_bfloat166__halfEvPKcPcl: ; @_ZL21cpy_scalar_contiguousI14__hip_bfloat166__halfEvPKcPcl
; %bb.0:
	s_clause 0x1
	s_load_b32 s4, s[0:1], 0x24
	s_load_b64 s[2:3], s[0:1], 0x10
	s_bfe_u32 s5, ttmp6, 0x4000c
	s_and_b32 s6, ttmp6, 15
	s_add_co_i32 s5, s5, 1
	s_getreg_b32 s7, hwreg(HW_REG_IB_STS2, 6, 4)
	s_mul_i32 s5, ttmp9, s5
	v_mov_b32_e32 v1, 0
	s_add_co_i32 s6, s6, s5
	s_wait_kmcnt 0x0
	s_and_b32 s4, s4, 0xffff
	s_cmp_eq_u32 s7, 0
	s_cselect_b32 s5, ttmp9, s6
	s_delay_alu instid0(SALU_CYCLE_1) | instskip(NEXT) | instid1(VALU_DEP_1)
	v_mad_nc_u64_u32 v[0:1], s4, s5, v[0:1]
	v_cmp_gt_i64_e32 vcc_lo, s[2:3], v[0:1]
	s_and_saveexec_b32 s2, vcc_lo
	s_cbranch_execz .LBB25_2
; %bb.1:
	s_load_b128 s[0:3], s[0:1], 0x0
	v_lshlrev_b64_e32 v[0:1], 1, v[0:1]
	s_wait_kmcnt 0x0
	s_delay_alu instid0(VALU_DEP_1) | instskip(SKIP_4) | instid1(VALU_DEP_1)
	v_add_nc_u64_e32 v[2:3], s[0:1], v[0:1]
	v_add_nc_u64_e32 v[0:1], s[2:3], v[0:1]
	global_load_u16 v2, v[2:3], off
	s_wait_loadcnt 0x0
	v_lshlrev_b32_e32 v2, 16, v2
	v_cvt_f16_f32_e32 v2, v2
	global_store_b16 v[0:1], v2, off
.LBB25_2:
	s_endpgm
	.section	.rodata,"a",@progbits
	.p2align	6, 0x0
	.amdhsa_kernel _ZL21cpy_scalar_contiguousI14__hip_bfloat166__halfEvPKcPcl
		.amdhsa_group_segment_fixed_size 0
		.amdhsa_private_segment_fixed_size 0
		.amdhsa_kernarg_size 280
		.amdhsa_user_sgpr_count 2
		.amdhsa_user_sgpr_dispatch_ptr 0
		.amdhsa_user_sgpr_queue_ptr 0
		.amdhsa_user_sgpr_kernarg_segment_ptr 1
		.amdhsa_user_sgpr_dispatch_id 0
		.amdhsa_user_sgpr_kernarg_preload_length 0
		.amdhsa_user_sgpr_kernarg_preload_offset 0
		.amdhsa_user_sgpr_private_segment_size 0
		.amdhsa_wavefront_size32 1
		.amdhsa_uses_dynamic_stack 0
		.amdhsa_enable_private_segment 0
		.amdhsa_system_sgpr_workgroup_id_x 1
		.amdhsa_system_sgpr_workgroup_id_y 0
		.amdhsa_system_sgpr_workgroup_id_z 0
		.amdhsa_system_sgpr_workgroup_info 0
		.amdhsa_system_vgpr_workitem_id 0
		.amdhsa_next_free_vgpr 4
		.amdhsa_next_free_sgpr 8
		.amdhsa_named_barrier_count 0
		.amdhsa_reserve_vcc 1
		.amdhsa_float_round_mode_32 0
		.amdhsa_float_round_mode_16_64 0
		.amdhsa_float_denorm_mode_32 3
		.amdhsa_float_denorm_mode_16_64 3
		.amdhsa_fp16_overflow 0
		.amdhsa_memory_ordered 1
		.amdhsa_forward_progress 1
		.amdhsa_inst_pref_size 2
		.amdhsa_round_robin_scheduling 0
		.amdhsa_exception_fp_ieee_invalid_op 0
		.amdhsa_exception_fp_denorm_src 0
		.amdhsa_exception_fp_ieee_div_zero 0
		.amdhsa_exception_fp_ieee_overflow 0
		.amdhsa_exception_fp_ieee_underflow 0
		.amdhsa_exception_fp_ieee_inexact 0
		.amdhsa_exception_int_div_zero 0
	.end_amdhsa_kernel
	.section	.text._ZL21cpy_scalar_contiguousI14__hip_bfloat166__halfEvPKcPcl,"axG",@progbits,_ZL21cpy_scalar_contiguousI14__hip_bfloat166__halfEvPKcPcl,comdat
.Lfunc_end25:
	.size	_ZL21cpy_scalar_contiguousI14__hip_bfloat166__halfEvPKcPcl, .Lfunc_end25-_ZL21cpy_scalar_contiguousI14__hip_bfloat166__halfEvPKcPcl
                                        ; -- End function
	.set _ZL21cpy_scalar_contiguousI14__hip_bfloat166__halfEvPKcPcl.num_vgpr, 4
	.set _ZL21cpy_scalar_contiguousI14__hip_bfloat166__halfEvPKcPcl.num_agpr, 0
	.set _ZL21cpy_scalar_contiguousI14__hip_bfloat166__halfEvPKcPcl.numbered_sgpr, 8
	.set _ZL21cpy_scalar_contiguousI14__hip_bfloat166__halfEvPKcPcl.num_named_barrier, 0
	.set _ZL21cpy_scalar_contiguousI14__hip_bfloat166__halfEvPKcPcl.private_seg_size, 0
	.set _ZL21cpy_scalar_contiguousI14__hip_bfloat166__halfEvPKcPcl.uses_vcc, 1
	.set _ZL21cpy_scalar_contiguousI14__hip_bfloat166__halfEvPKcPcl.uses_flat_scratch, 0
	.set _ZL21cpy_scalar_contiguousI14__hip_bfloat166__halfEvPKcPcl.has_dyn_sized_stack, 0
	.set _ZL21cpy_scalar_contiguousI14__hip_bfloat166__halfEvPKcPcl.has_recursion, 0
	.set _ZL21cpy_scalar_contiguousI14__hip_bfloat166__halfEvPKcPcl.has_indirect_call, 0
	.section	.AMDGPU.csdata,"",@progbits
; Kernel info:
; codeLenInByte = 164
; TotalNumSgprs: 10
; NumVgprs: 4
; ScratchSize: 0
; MemoryBound: 0
; FloatMode: 240
; IeeeMode: 1
; LDSByteSize: 0 bytes/workgroup (compile time only)
; SGPRBlocks: 0
; VGPRBlocks: 0
; NumSGPRsForWavesPerEU: 10
; NumVGPRsForWavesPerEU: 4
; NamedBarCnt: 0
; Occupancy: 16
; WaveLimiterHint : 0
; COMPUTE_PGM_RSRC2:SCRATCH_EN: 0
; COMPUTE_PGM_RSRC2:USER_SGPR: 2
; COMPUTE_PGM_RSRC2:TRAP_HANDLER: 0
; COMPUTE_PGM_RSRC2:TGID_X_EN: 1
; COMPUTE_PGM_RSRC2:TGID_Y_EN: 0
; COMPUTE_PGM_RSRC2:TGID_Z_EN: 0
; COMPUTE_PGM_RSRC2:TIDIG_COMP_CNT: 0
	.section	.text._ZL10cpy_scalarIXadL_ZL12cpy_1_scalarI14__hip_bfloat166__halfEvPKcPcEEEvS4_S5_lllllllllllllll,"axG",@progbits,_ZL10cpy_scalarIXadL_ZL12cpy_1_scalarI14__hip_bfloat166__halfEvPKcPcEEEvS4_S5_lllllllllllllll,comdat
	.globl	_ZL10cpy_scalarIXadL_ZL12cpy_1_scalarI14__hip_bfloat166__halfEvPKcPcEEEvS4_S5_lllllllllllllll ; -- Begin function _ZL10cpy_scalarIXadL_ZL12cpy_1_scalarI14__hip_bfloat166__halfEvPKcPcEEEvS4_S5_lllllllllllllll
	.p2align	8
	.type	_ZL10cpy_scalarIXadL_ZL12cpy_1_scalarI14__hip_bfloat166__halfEvPKcPcEEEvS4_S5_lllllllllllllll,@function
_ZL10cpy_scalarIXadL_ZL12cpy_1_scalarI14__hip_bfloat166__halfEvPKcPcEEEvS4_S5_lllllllllllllll: ; @_ZL10cpy_scalarIXadL_ZL12cpy_1_scalarI14__hip_bfloat166__halfEvPKcPcEEEvS4_S5_lllllllllllllll
; %bb.0:
	s_load_b32 s2, s[0:1], 0x94
	s_bfe_u32 s4, ttmp6, 0x4000c
	v_mov_b32_e32 v2, 0
	s_add_co_i32 s21, s4, 1
	s_load_b512 s[4:19], s[0:1], 0x0
	s_and_b32 s3, ttmp6, 15
	s_mul_i32 s21, ttmp9, s21
	s_getreg_b32 s20, hwreg(HW_REG_IB_STS2, 6, 4)
	v_mov_b32_e32 v1, v2
	s_add_co_i32 s3, s3, s21
	s_wait_kmcnt 0x0
	s_and_b32 s2, s2, 0xffff
	s_cmp_eq_u32 s20, 0
	s_cselect_b32 s3, ttmp9, s3
	s_delay_alu instid0(SALU_CYCLE_1) | instskip(SKIP_1) | instid1(VALU_DEP_1)
	v_mad_nc_u64_u32 v[4:5], s2, s3, v[0:1]
	s_mov_b32 s2, exec_lo
	v_cmpx_gt_i64_e64 s[8:9], v[4:5]
	s_cbranch_execz .LBB26_26
; %bb.1:
	s_mul_u64 s[8:9], s[12:13], s[10:11]
                                        ; implicit-def: $vgpr0_vgpr1
	s_mov_b32 s2, exec_lo
	s_mul_u64 s[12:13], s[8:9], s[14:15]
	s_delay_alu instid0(SALU_CYCLE_1) | instskip(NEXT) | instid1(VALU_DEP_1)
	v_dual_ashrrev_i32 v8, 31, v5 :: v_dual_bitop2_b32 v3, s13, v5 bitop3:0x54
	v_cmpx_ne_u64_e32 0, v[2:3]
	s_xor_b32 s3, exec_lo, s2
	s_cbranch_execz .LBB26_3
; %bb.2:
	s_ashr_i32 s14, s13, 31
	s_mov_b32 s29, 0
	s_mov_b32 s15, s14
	v_dual_mov_b32 v9, v8 :: v_dual_mov_b32 v3, 0
	s_add_nc_u64 s[20:21], s[12:13], s[14:15]
	s_delay_alu instid0(SALU_CYCLE_1) | instskip(NEXT) | instid1(VALU_DEP_1)
	s_xor_b64 s[20:21], s[20:21], s[14:15]
	v_add_nc_u64_e32 v[0:1], v[4:5], v[8:9]
	s_cvt_f32_u32 s2, s20
	s_cvt_f32_u32 s15, s21
	s_sub_nc_u64 s[24:25], 0, s[20:21]
	v_dual_mov_b32 v7, v3 :: v_dual_mov_b32 v15, v3
	s_delay_alu instid0(SALU_CYCLE_1) | instskip(NEXT) | instid1(VALU_DEP_2)
	s_fmamk_f32 s2, s15, 0x4f800000, s2
	v_xor_b32_e32 v2, v0, v8
	v_xor_b32_e32 v6, v1, v8
	s_delay_alu instid0(SALU_CYCLE_1) | instskip(NEXT) | instid1(TRANS32_DEP_1)
	v_s_rcp_f32 s2, s2
	s_mul_f32 s2, s2, 0x5f7ffffc
	s_delay_alu instid0(SALU_CYCLE_3) | instskip(NEXT) | instid1(SALU_CYCLE_3)
	s_mul_f32 s15, s2, 0x2f800000
	s_trunc_f32 s15, s15
	s_delay_alu instid0(SALU_CYCLE_3) | instskip(SKIP_1) | instid1(SALU_CYCLE_2)
	s_fmamk_f32 s2, s15, 0xcf800000, s2
	s_cvt_u32_f32 s23, s15
	s_cvt_u32_f32 s22, s2
	s_delay_alu instid0(SALU_CYCLE_3) | instskip(NEXT) | instid1(SALU_CYCLE_1)
	s_mul_u64 s[26:27], s[24:25], s[22:23]
	s_mul_hi_u32 s31, s22, s27
	s_mul_i32 s30, s22, s27
	s_mul_hi_u32 s28, s22, s26
	s_mul_i32 s15, s23, s26
	s_add_nc_u64 s[30:31], s[28:29], s[30:31]
	s_mul_hi_u32 s2, s23, s26
	s_mul_hi_u32 s33, s23, s27
	s_add_co_u32 s15, s30, s15
	s_add_co_ci_u32 s28, s31, s2
	s_mul_i32 s26, s23, s27
	s_add_co_ci_u32 s27, s33, 0
	s_delay_alu instid0(SALU_CYCLE_1) | instskip(NEXT) | instid1(SALU_CYCLE_1)
	s_add_nc_u64 s[26:27], s[28:29], s[26:27]
	s_add_co_u32 s22, s22, s26
	s_cselect_b32 s2, -1, 0
	s_delay_alu instid0(SALU_CYCLE_1) | instskip(SKIP_1) | instid1(SALU_CYCLE_1)
	s_cmp_lg_u32 s2, 0
	s_add_co_ci_u32 s23, s23, s27
	s_mul_u64 s[24:25], s[24:25], s[22:23]
	s_delay_alu instid0(SALU_CYCLE_1)
	s_mul_hi_u32 s27, s22, s25
	s_mul_i32 s26, s22, s25
	s_mul_hi_u32 s28, s22, s24
	s_mul_i32 s15, s23, s24
	s_add_nc_u64 s[26:27], s[28:29], s[26:27]
	s_mul_hi_u32 s2, s23, s24
	s_mul_hi_u32 s30, s23, s25
	s_add_co_u32 s15, s26, s15
	s_add_co_ci_u32 s28, s27, s2
	s_mul_i32 s24, s23, s25
	s_add_co_ci_u32 s25, s30, 0
	s_delay_alu instid0(SALU_CYCLE_1) | instskip(NEXT) | instid1(SALU_CYCLE_1)
	s_add_nc_u64 s[24:25], s[28:29], s[24:25]
	s_add_co_u32 s2, s22, s24
	s_cselect_b32 s15, -1, 0
	v_nop
	v_mul_hi_u32 v14, v2, s2
	s_cmp_lg_u32 s15, 0
	s_add_co_ci_u32 s28, s23, s25
	s_mov_b64 s[22:23], 0xffffffff
	v_mul_u64_e32 v[10:11], s[28:29], v[2:3]
	s_and_b64 s[22:23], s[2:3], s[22:23]
	v_mul_u64_e32 v[12:13], s[28:29], v[6:7]
	v_mul_u64_e32 v[0:1], s[22:23], v[6:7]
	s_delay_alu instid0(VALU_DEP_3) | instskip(NEXT) | instid1(VALU_DEP_1)
	v_add_nc_u64_e32 v[10:11], v[14:15], v[10:11]
	v_add_co_u32 v0, vcc_lo, v10, v0
	s_delay_alu instid0(VALU_DEP_2) | instskip(SKIP_1) | instid1(VALU_DEP_1)
	v_add_co_ci_u32_e32 v14, vcc_lo, v11, v1, vcc_lo
	v_add_co_ci_u32_e32 v13, vcc_lo, 0, v13, vcc_lo
	v_add_nc_u64_e32 v[0:1], v[14:15], v[12:13]
	s_delay_alu instid0(VALU_DEP_1) | instskip(NEXT) | instid1(VALU_DEP_1)
	v_mul_u64_e32 v[10:11], s[20:21], v[0:1]
	v_sub_nc_u32_e32 v3, v6, v11
	s_delay_alu instid0(VALU_DEP_2) | instskip(NEXT) | instid1(VALU_DEP_1)
	v_sub_co_u32 v2, vcc_lo, v2, v10
	v_sub_co_ci_u32_e64 v9, null, v6, v11, vcc_lo
	s_delay_alu instid0(VALU_DEP_3) | instskip(NEXT) | instid1(VALU_DEP_3)
	v_subrev_co_ci_u32_e64 v3, null, s21, v3, vcc_lo
	v_sub_co_u32 v7, s2, v2, s20
	s_delay_alu instid0(VALU_DEP_1) | instskip(NEXT) | instid1(VALU_DEP_2)
	v_subrev_co_ci_u32_e64 v3, null, 0, v3, s2
	v_cmp_le_u32_e32 vcc_lo, s20, v7
	v_cndmask_b32_e64 v6, 0, -1, vcc_lo
	s_delay_alu instid0(VALU_DEP_3)
	v_cmp_le_u32_e32 vcc_lo, s21, v3
	v_cndmask_b32_e64 v7, 0, -1, vcc_lo
	v_cmp_le_u32_e32 vcc_lo, s20, v2
	v_cndmask_b32_e64 v10, 0, -1, vcc_lo
	;; [unrolled: 2-line block ×3, first 2 shown]
	v_cmp_eq_u32_e32 vcc_lo, s21, v3
	v_add_nc_u64_e32 v[2:3], 2, v[0:1]
	v_cndmask_b32_e32 v12, v7, v6, vcc_lo
	v_cmp_eq_u32_e32 vcc_lo, s21, v9
	v_add_nc_u64_e32 v[6:7], 1, v[0:1]
	v_cndmask_b32_e32 v9, v11, v10, vcc_lo
	s_delay_alu instid0(VALU_DEP_4) | instskip(NEXT) | instid1(VALU_DEP_3)
	v_cmp_ne_u32_e32 vcc_lo, 0, v12
	v_dual_cndmask_b32 v3, v7, v3 :: v_dual_cndmask_b32 v6, v6, v2
	v_xor_b32_e32 v2, s14, v8
	s_delay_alu instid0(VALU_DEP_4) | instskip(NEXT) | instid1(VALU_DEP_1)
	v_cmp_ne_u32_e64 s2, 0, v9
	v_dual_cndmask_b32 v1, v1, v3, s2 :: v_dual_cndmask_b32 v0, v0, v6, s2
	s_delay_alu instid0(VALU_DEP_1) | instskip(NEXT) | instid1(VALU_DEP_2)
	v_dual_mov_b32 v3, v2 :: v_dual_bitop2_b32 v1, v1, v2 bitop3:0x14
	v_xor_b32_e32 v0, v0, v2
	s_delay_alu instid0(VALU_DEP_1)
	v_sub_nc_u64_e32 v[0:1], v[0:1], v[2:3]
.LBB26_3:
	s_and_not1_saveexec_b32 s2, s3
	s_cbranch_execz .LBB26_5
; %bb.4:
	v_cvt_f32_u32_e32 v0, s12
	s_sub_co_i32 s3, 0, s12
	s_delay_alu instid0(VALU_DEP_1) | instskip(SKIP_1) | instid1(TRANS32_DEP_1)
	v_rcp_iflag_f32_e32 v0, v0
	v_nop
	v_mul_f32_e32 v0, 0x4f7ffffe, v0
	s_delay_alu instid0(VALU_DEP_1) | instskip(NEXT) | instid1(VALU_DEP_1)
	v_cvt_u32_f32_e32 v0, v0
	v_mul_lo_u32 v1, s3, v0
	s_delay_alu instid0(VALU_DEP_1) | instskip(NEXT) | instid1(VALU_DEP_1)
	v_mul_hi_u32 v1, v0, v1
	v_add_nc_u32_e32 v0, v0, v1
	s_delay_alu instid0(VALU_DEP_1) | instskip(NEXT) | instid1(VALU_DEP_1)
	v_mul_hi_u32 v0, v4, v0
	v_mul_lo_u32 v1, v0, s12
	s_delay_alu instid0(VALU_DEP_1) | instskip(NEXT) | instid1(VALU_DEP_1)
	v_dual_add_nc_u32 v2, 1, v0 :: v_dual_sub_nc_u32 v1, v4, v1
	v_subrev_nc_u32_e32 v3, s12, v1
	v_cmp_le_u32_e32 vcc_lo, s12, v1
	s_delay_alu instid0(VALU_DEP_2) | instskip(NEXT) | instid1(VALU_DEP_1)
	v_dual_cndmask_b32 v1, v1, v3 :: v_dual_cndmask_b32 v0, v0, v2
	v_cmp_le_u32_e32 vcc_lo, s12, v1
	s_delay_alu instid0(VALU_DEP_2) | instskip(NEXT) | instid1(VALU_DEP_1)
	v_dual_mov_b32 v1, 0 :: v_dual_add_nc_u32 v2, 1, v0
	v_cndmask_b32_e32 v0, v0, v2, vcc_lo
.LBB26_5:
	s_or_b32 exec_lo, exec_lo, s2
	s_delay_alu instid0(VALU_DEP_1) | instskip(SKIP_2) | instid1(VALU_DEP_2)
	v_mul_u64_e32 v[2:3], s[12:13], v[0:1]
	s_mov_b32 s2, exec_lo
	v_mov_b32_e32 v10, 0
	v_sub_nc_u64_e32 v[6:7], v[4:5], v[2:3]
                                        ; implicit-def: $vgpr2_vgpr3
	s_delay_alu instid0(VALU_DEP_1) | instskip(NEXT) | instid1(VALU_DEP_1)
	v_or_b32_e32 v11, s9, v7
	v_cmpx_ne_u64_e32 0, v[10:11]
	s_xor_b32 s3, exec_lo, s2
	s_cbranch_execz .LBB26_7
; %bb.6:
	s_ashr_i32 s12, s9, 31
	s_mov_b32 s27, 0
	s_mov_b32 s13, s12
	v_dual_mov_b32 v15, v10 :: v_dual_ashrrev_i32 v2, 31, v7
	s_add_nc_u64 s[14:15], s[8:9], s[12:13]
	v_dual_mov_b32 v23, v10 :: v_dual_mov_b32 v11, v10
	s_xor_b64 s[14:15], s[14:15], s[12:13]
	s_delay_alu instid0(VALU_DEP_2) | instskip(SKIP_3) | instid1(VALU_DEP_1)
	v_mov_b32_e32 v3, v2
	s_cvt_f32_u32 s2, s14
	s_cvt_f32_u32 s13, s15
	s_sub_nc_u64 s[22:23], 0, s[14:15]
	v_add_nc_u64_e32 v[12:13], v[6:7], v[2:3]
	s_delay_alu instid0(SALU_CYCLE_1) | instskip(SKIP_1) | instid1(SALU_CYCLE_2)
	s_fmamk_f32 s2, s13, 0x4f800000, s2
	v_mov_b32_e32 v17, v10
	v_s_rcp_f32 s2, s2
	s_delay_alu instid0(VALU_DEP_2) | instskip(NEXT) | instid1(VALU_DEP_3)
	v_xor_b32_e32 v14, v12, v2
	v_xor_b32_e32 v16, v13, v2
	;; [unrolled: 1-line block ×3, first 2 shown]
	s_delay_alu instid0(TRANS32_DEP_1) | instskip(NEXT) | instid1(SALU_CYCLE_3)
	s_mul_f32 s2, s2, 0x5f7ffffc
	s_mul_f32 s13, s2, 0x2f800000
	s_delay_alu instid0(SALU_CYCLE_3) | instskip(NEXT) | instid1(SALU_CYCLE_3)
	s_trunc_f32 s13, s13
	s_fmamk_f32 s2, s13, 0xcf800000, s2
	s_cvt_u32_f32 s21, s13
	s_delay_alu instid0(SALU_CYCLE_2) | instskip(NEXT) | instid1(SALU_CYCLE_3)
	s_cvt_u32_f32 s20, s2
	s_mul_u64 s[24:25], s[22:23], s[20:21]
	s_delay_alu instid0(SALU_CYCLE_1)
	s_mul_hi_u32 s29, s20, s25
	s_mul_i32 s28, s20, s25
	s_mul_hi_u32 s26, s20, s24
	s_mul_i32 s13, s21, s24
	s_add_nc_u64 s[28:29], s[26:27], s[28:29]
	s_mul_hi_u32 s2, s21, s24
	s_mul_hi_u32 s30, s21, s25
	s_add_co_u32 s13, s28, s13
	s_add_co_ci_u32 s26, s29, s2
	s_mul_i32 s24, s21, s25
	s_add_co_ci_u32 s25, s30, 0
	s_delay_alu instid0(SALU_CYCLE_1) | instskip(NEXT) | instid1(SALU_CYCLE_1)
	s_add_nc_u64 s[24:25], s[26:27], s[24:25]
	s_add_co_u32 s20, s20, s24
	s_cselect_b32 s2, -1, 0
	s_delay_alu instid0(SALU_CYCLE_1) | instskip(SKIP_1) | instid1(SALU_CYCLE_1)
	s_cmp_lg_u32 s2, 0
	s_add_co_ci_u32 s21, s21, s25
	s_mul_u64 s[22:23], s[22:23], s[20:21]
	s_delay_alu instid0(SALU_CYCLE_1)
	s_mul_hi_u32 s25, s20, s23
	s_mul_i32 s24, s20, s23
	s_mul_hi_u32 s26, s20, s22
	s_mul_i32 s13, s21, s22
	s_add_nc_u64 s[24:25], s[26:27], s[24:25]
	s_mul_hi_u32 s2, s21, s22
	s_mul_hi_u32 s28, s21, s23
	s_add_co_u32 s13, s24, s13
	s_add_co_ci_u32 s26, s25, s2
	s_mul_i32 s22, s21, s23
	s_add_co_ci_u32 s23, s28, 0
	s_delay_alu instid0(SALU_CYCLE_1) | instskip(NEXT) | instid1(SALU_CYCLE_1)
	s_add_nc_u64 s[22:23], s[26:27], s[22:23]
	s_add_co_u32 s2, s20, s22
	s_cselect_b32 s13, -1, 0
	v_mul_hi_u32 v22, v14, s2
	s_cmp_lg_u32 s13, 0
	s_add_co_ci_u32 s26, s21, s23
	s_mov_b64 s[20:21], 0xffffffff
	v_mul_u64_e32 v[18:19], s[26:27], v[14:15]
	s_and_b64 s[20:21], s[2:3], s[20:21]
	v_mul_u64_e32 v[20:21], s[26:27], v[16:17]
	v_mul_u64_e32 v[12:13], s[20:21], v[16:17]
	s_delay_alu instid0(VALU_DEP_3) | instskip(NEXT) | instid1(VALU_DEP_1)
	v_add_nc_u64_e32 v[18:19], v[22:23], v[18:19]
	v_add_co_u32 v3, vcc_lo, v18, v12
	s_delay_alu instid0(VALU_DEP_2) | instskip(SKIP_1) | instid1(VALU_DEP_1)
	v_add_co_ci_u32_e32 v10, vcc_lo, v19, v13, vcc_lo
	v_add_co_ci_u32_e32 v21, vcc_lo, 0, v21, vcc_lo
	v_add_nc_u64_e32 v[10:11], v[10:11], v[20:21]
	s_delay_alu instid0(VALU_DEP_1) | instskip(NEXT) | instid1(VALU_DEP_1)
	v_mul_u64_e32 v[12:13], s[14:15], v[10:11]
	v_sub_co_u32 v9, vcc_lo, v14, v12
	v_add_nc_u64_e32 v[14:15], 1, v[10:11]
	s_delay_alu instid0(VALU_DEP_3) | instskip(SKIP_1) | instid1(VALU_DEP_4)
	v_sub_nc_u32_e32 v3, v16, v13
	v_sub_co_ci_u32_e64 v16, null, v16, v13, vcc_lo
	v_sub_co_u32 v12, s2, v9, s14
	s_delay_alu instid0(VALU_DEP_3) | instskip(NEXT) | instid1(VALU_DEP_2)
	v_subrev_co_ci_u32_e64 v3, null, s15, v3, vcc_lo
	v_cmp_le_u32_e32 vcc_lo, s14, v12
	s_delay_alu instid0(VALU_DEP_2) | instskip(SKIP_1) | instid1(VALU_DEP_2)
	v_subrev_co_ci_u32_e64 v3, null, 0, v3, s2
	v_cndmask_b32_e64 v12, 0, -1, vcc_lo
	v_cmp_le_u32_e32 vcc_lo, s15, v3
	v_cndmask_b32_e64 v13, 0, -1, vcc_lo
	v_cmp_le_u32_e32 vcc_lo, s14, v9
	;; [unrolled: 2-line block ×3, first 2 shown]
	v_cndmask_b32_e64 v17, 0, -1, vcc_lo
	v_cmp_eq_u32_e32 vcc_lo, s15, v3
	v_cndmask_b32_e32 v3, v13, v12, vcc_lo
	v_cmp_eq_u32_e32 vcc_lo, s15, v16
	v_add_nc_u64_e32 v[12:13], 2, v[10:11]
	v_cndmask_b32_e32 v9, v17, v9, vcc_lo
	s_delay_alu instid0(VALU_DEP_4) | instskip(NEXT) | instid1(VALU_DEP_2)
	v_cmp_ne_u32_e32 vcc_lo, 0, v3
	v_cmp_ne_u32_e64 s2, 0, v9
	s_delay_alu instid0(VALU_DEP_4) | instskip(NEXT) | instid1(VALU_DEP_1)
	v_cndmask_b32_e32 v9, v14, v12, vcc_lo
	v_cndmask_b32_e64 v9, v10, v9, s2
	s_delay_alu instid0(VALU_DEP_1) | instskip(NEXT) | instid1(VALU_DEP_1)
	v_dual_cndmask_b32 v3, v15, v13, vcc_lo :: v_dual_bitop2_b32 v10, v9, v2 bitop3:0x14
	v_dual_cndmask_b32 v11, v11, v3, s2 :: v_dual_mov_b32 v3, v2
	s_delay_alu instid0(VALU_DEP_1) | instskip(NEXT) | instid1(VALU_DEP_1)
	v_xor_b32_e32 v11, v11, v2
	v_sub_nc_u64_e32 v[2:3], v[10:11], v[2:3]
.LBB26_7:
	s_and_not1_saveexec_b32 s2, s3
	s_cbranch_execz .LBB26_9
; %bb.8:
	v_cvt_f32_u32_e32 v2, s8
	s_sub_co_i32 s3, 0, s8
	s_delay_alu instid0(VALU_DEP_1) | instskip(SKIP_1) | instid1(TRANS32_DEP_1)
	v_rcp_iflag_f32_e32 v2, v2
	v_nop
	v_mul_f32_e32 v2, 0x4f7ffffe, v2
	s_delay_alu instid0(VALU_DEP_1) | instskip(NEXT) | instid1(VALU_DEP_1)
	v_cvt_u32_f32_e32 v2, v2
	v_mul_lo_u32 v3, s3, v2
	s_delay_alu instid0(VALU_DEP_1) | instskip(NEXT) | instid1(VALU_DEP_1)
	v_mul_hi_u32 v3, v2, v3
	v_add_nc_u32_e32 v2, v2, v3
	s_delay_alu instid0(VALU_DEP_1) | instskip(NEXT) | instid1(VALU_DEP_1)
	v_mul_hi_u32 v2, v6, v2
	v_mul_lo_u32 v3, v2, s8
	s_delay_alu instid0(VALU_DEP_1) | instskip(NEXT) | instid1(VALU_DEP_1)
	v_dual_add_nc_u32 v9, 1, v2 :: v_dual_sub_nc_u32 v3, v6, v3
	v_subrev_nc_u32_e32 v10, s8, v3
	v_cmp_le_u32_e32 vcc_lo, s8, v3
	s_delay_alu instid0(VALU_DEP_2) | instskip(NEXT) | instid1(VALU_DEP_1)
	v_dual_cndmask_b32 v3, v3, v10 :: v_dual_cndmask_b32 v2, v2, v9
	v_cmp_le_u32_e32 vcc_lo, s8, v3
	s_delay_alu instid0(VALU_DEP_2) | instskip(NEXT) | instid1(VALU_DEP_1)
	v_dual_add_nc_u32 v9, 1, v2 :: v_dual_mov_b32 v3, 0
	v_cndmask_b32_e32 v2, v2, v9, vcc_lo
.LBB26_9:
	s_or_b32 exec_lo, exec_lo, s2
	s_delay_alu instid0(VALU_DEP_1) | instskip(SKIP_2) | instid1(VALU_DEP_2)
	v_mul_u64_e32 v[10:11], s[8:9], v[2:3]
	s_mov_b32 s2, exec_lo
	v_mov_b32_e32 v12, 0
	v_sub_nc_u64_e32 v[6:7], v[6:7], v[10:11]
                                        ; implicit-def: $vgpr10_vgpr11
	s_delay_alu instid0(VALU_DEP_1) | instskip(NEXT) | instid1(VALU_DEP_1)
	v_or_b32_e32 v13, s11, v7
	v_cmpx_ne_u64_e32 0, v[12:13]
	s_xor_b32 s3, exec_lo, s2
	s_cbranch_execz .LBB26_11
; %bb.10:
	s_ashr_i32 s8, s11, 31
	s_mov_b32 s25, 0
	s_mov_b32 s9, s8
	v_dual_mov_b32 v17, v12 :: v_dual_ashrrev_i32 v10, 31, v7
	s_add_nc_u64 s[12:13], s[10:11], s[8:9]
	v_mov_b32_e32 v19, v12
	s_xor_b64 s[12:13], s[12:13], s[8:9]
	s_delay_alu instid0(VALU_DEP_2)
	v_mov_b32_e32 v11, v10
	s_cvt_f32_u32 s2, s12
	s_cvt_f32_u32 s9, s13
	s_sub_nc_u64 s[20:21], 0, s[12:13]
	v_mov_b32_e32 v25, v12
	v_add_nc_u64_e32 v[14:15], v[6:7], v[10:11]
	s_fmamk_f32 s2, s9, 0x4f800000, s2
	v_mov_b32_e32 v13, v12
	s_delay_alu instid0(SALU_CYCLE_2) | instskip(NEXT) | instid1(VALU_DEP_2)
	v_s_rcp_f32 s2, s2
	v_xor_b32_e32 v16, v14, v10
	s_delay_alu instid0(VALU_DEP_3) | instskip(SKIP_1) | instid1(TRANS32_DEP_1)
	v_xor_b32_e32 v18, v15, v10
	v_xor_b32_e32 v10, s8, v10
	s_mul_f32 s2, s2, 0x5f7ffffc
	s_delay_alu instid0(SALU_CYCLE_3) | instskip(NEXT) | instid1(SALU_CYCLE_3)
	s_mul_f32 s9, s2, 0x2f800000
	s_trunc_f32 s9, s9
	s_delay_alu instid0(SALU_CYCLE_3) | instskip(SKIP_1) | instid1(SALU_CYCLE_2)
	s_fmamk_f32 s2, s9, 0xcf800000, s2
	s_cvt_u32_f32 s15, s9
	s_cvt_u32_f32 s14, s2
	s_delay_alu instid0(SALU_CYCLE_3) | instskip(NEXT) | instid1(SALU_CYCLE_1)
	s_mul_u64 s[22:23], s[20:21], s[14:15]
	s_mul_hi_u32 s27, s14, s23
	s_mul_i32 s26, s14, s23
	s_mul_hi_u32 s24, s14, s22
	s_mul_i32 s9, s15, s22
	s_add_nc_u64 s[26:27], s[24:25], s[26:27]
	s_mul_hi_u32 s2, s15, s22
	s_mul_hi_u32 s28, s15, s23
	s_add_co_u32 s9, s26, s9
	s_add_co_ci_u32 s24, s27, s2
	s_mul_i32 s22, s15, s23
	s_add_co_ci_u32 s23, s28, 0
	s_delay_alu instid0(SALU_CYCLE_1) | instskip(NEXT) | instid1(SALU_CYCLE_1)
	s_add_nc_u64 s[22:23], s[24:25], s[22:23]
	s_add_co_u32 s14, s14, s22
	s_cselect_b32 s2, -1, 0
	s_delay_alu instid0(SALU_CYCLE_1) | instskip(SKIP_1) | instid1(SALU_CYCLE_1)
	s_cmp_lg_u32 s2, 0
	s_add_co_ci_u32 s15, s15, s23
	s_mul_u64 s[20:21], s[20:21], s[14:15]
	s_delay_alu instid0(SALU_CYCLE_1)
	s_mul_hi_u32 s23, s14, s21
	s_mul_i32 s22, s14, s21
	s_mul_hi_u32 s24, s14, s20
	s_mul_i32 s9, s15, s20
	s_add_nc_u64 s[22:23], s[24:25], s[22:23]
	s_mul_hi_u32 s2, s15, s20
	s_mul_hi_u32 s26, s15, s21
	s_add_co_u32 s9, s22, s9
	s_add_co_ci_u32 s24, s23, s2
	s_mul_i32 s20, s15, s21
	s_add_co_ci_u32 s21, s26, 0
	s_delay_alu instid0(SALU_CYCLE_1) | instskip(NEXT) | instid1(SALU_CYCLE_1)
	s_add_nc_u64 s[20:21], s[24:25], s[20:21]
	s_add_co_u32 s2, s14, s20
	s_cselect_b32 s9, -1, 0
	v_mul_hi_u32 v24, v16, s2
	s_cmp_lg_u32 s9, 0
	s_add_co_ci_u32 s24, s15, s21
	s_mov_b64 s[14:15], 0xffffffff
	v_mul_u64_e32 v[20:21], s[24:25], v[16:17]
	s_and_b64 s[14:15], s[2:3], s[14:15]
	v_mul_u64_e32 v[22:23], s[24:25], v[18:19]
	v_mul_u64_e32 v[14:15], s[14:15], v[18:19]
	s_delay_alu instid0(VALU_DEP_3) | instskip(NEXT) | instid1(VALU_DEP_1)
	v_add_nc_u64_e32 v[20:21], v[24:25], v[20:21]
	v_add_co_u32 v9, vcc_lo, v20, v14
	s_delay_alu instid0(VALU_DEP_2) | instskip(SKIP_1) | instid1(VALU_DEP_1)
	v_add_co_ci_u32_e32 v12, vcc_lo, v21, v15, vcc_lo
	v_add_co_ci_u32_e32 v23, vcc_lo, 0, v23, vcc_lo
	v_add_nc_u64_e32 v[12:13], v[12:13], v[22:23]
	s_delay_alu instid0(VALU_DEP_1) | instskip(NEXT) | instid1(VALU_DEP_1)
	v_mul_u64_e32 v[14:15], s[12:13], v[12:13]
	v_sub_co_u32 v11, vcc_lo, v16, v14
	v_add_nc_u64_e32 v[16:17], 1, v[12:13]
	s_delay_alu instid0(VALU_DEP_3) | instskip(SKIP_1) | instid1(VALU_DEP_4)
	v_sub_nc_u32_e32 v9, v18, v15
	v_sub_co_ci_u32_e64 v18, null, v18, v15, vcc_lo
	v_sub_co_u32 v14, s2, v11, s12
	s_delay_alu instid0(VALU_DEP_3) | instskip(NEXT) | instid1(VALU_DEP_2)
	v_subrev_co_ci_u32_e64 v9, null, s13, v9, vcc_lo
	v_cmp_le_u32_e32 vcc_lo, s12, v14
	s_delay_alu instid0(VALU_DEP_2) | instskip(SKIP_1) | instid1(VALU_DEP_2)
	v_subrev_co_ci_u32_e64 v9, null, 0, v9, s2
	v_cndmask_b32_e64 v14, 0, -1, vcc_lo
	v_cmp_le_u32_e32 vcc_lo, s13, v9
	v_cndmask_b32_e64 v15, 0, -1, vcc_lo
	v_cmp_le_u32_e32 vcc_lo, s12, v11
	;; [unrolled: 2-line block ×3, first 2 shown]
	v_cndmask_b32_e64 v19, 0, -1, vcc_lo
	v_cmp_eq_u32_e32 vcc_lo, s13, v9
	v_cndmask_b32_e32 v9, v15, v14, vcc_lo
	v_cmp_eq_u32_e32 vcc_lo, s13, v18
	v_add_nc_u64_e32 v[14:15], 2, v[12:13]
	v_cndmask_b32_e32 v11, v19, v11, vcc_lo
	s_delay_alu instid0(VALU_DEP_4) | instskip(NEXT) | instid1(VALU_DEP_2)
	v_cmp_ne_u32_e32 vcc_lo, 0, v9
	v_cmp_ne_u32_e64 s2, 0, v11
	s_delay_alu instid0(VALU_DEP_4) | instskip(NEXT) | instid1(VALU_DEP_1)
	v_dual_cndmask_b32 v9, v17, v15, vcc_lo :: v_dual_cndmask_b32 v11, v16, v14, vcc_lo
	v_dual_cndmask_b32 v12, v12, v11, s2 :: v_dual_mov_b32 v11, v10
	s_delay_alu instid0(VALU_DEP_1) | instskip(NEXT) | instid1(VALU_DEP_1)
	v_dual_cndmask_b32 v9, v13, v9, s2 :: v_dual_bitop2_b32 v12, v12, v10 bitop3:0x14
	v_xor_b32_e32 v13, v9, v10
	s_delay_alu instid0(VALU_DEP_1)
	v_sub_nc_u64_e32 v[10:11], v[12:13], v[10:11]
.LBB26_11:
	s_and_not1_saveexec_b32 s2, s3
	s_cbranch_execz .LBB26_13
; %bb.12:
	v_cvt_f32_u32_e32 v9, s10
	s_sub_co_i32 s3, 0, s10
	s_delay_alu instid0(VALU_DEP_1) | instskip(SKIP_1) | instid1(TRANS32_DEP_1)
	v_rcp_iflag_f32_e32 v9, v9
	v_nop
	v_mul_f32_e32 v9, 0x4f7ffffe, v9
	s_delay_alu instid0(VALU_DEP_1) | instskip(NEXT) | instid1(VALU_DEP_1)
	v_cvt_u32_f32_e32 v9, v9
	v_mul_lo_u32 v10, s3, v9
	s_delay_alu instid0(VALU_DEP_1) | instskip(NEXT) | instid1(VALU_DEP_1)
	v_mul_hi_u32 v10, v9, v10
	v_add_nc_u32_e32 v9, v9, v10
	s_delay_alu instid0(VALU_DEP_1) | instskip(NEXT) | instid1(VALU_DEP_1)
	v_mul_hi_u32 v9, v6, v9
	v_mul_lo_u32 v10, v9, s10
	s_delay_alu instid0(VALU_DEP_1) | instskip(NEXT) | instid1(VALU_DEP_1)
	v_dual_add_nc_u32 v11, 1, v9 :: v_dual_sub_nc_u32 v10, v6, v10
	v_subrev_nc_u32_e32 v12, s10, v10
	v_cmp_le_u32_e32 vcc_lo, s10, v10
	s_delay_alu instid0(VALU_DEP_2) | instskip(NEXT) | instid1(VALU_DEP_1)
	v_dual_cndmask_b32 v10, v10, v12 :: v_dual_cndmask_b32 v9, v9, v11
	v_cmp_le_u32_e32 vcc_lo, s10, v10
	s_delay_alu instid0(VALU_DEP_2) | instskip(NEXT) | instid1(VALU_DEP_1)
	v_add_nc_u32_e32 v11, 1, v9
	v_dual_cndmask_b32 v10, v9, v11 :: v_dual_mov_b32 v11, 0
.LBB26_13:
	s_or_b32 exec_lo, exec_lo, s2
	s_load_b512 s[36:51], s[0:1], 0x40
                                        ; implicit-def: $vgpr12_vgpr13
	s_mov_b32 s2, exec_lo
	v_mov_b32_e32 v14, 0
	s_wait_kmcnt 0x0
	s_mul_u64 s[8:9], s[42:43], s[40:41]
	s_delay_alu instid0(SALU_CYCLE_1) | instskip(NEXT) | instid1(SALU_CYCLE_1)
	s_mul_u64 s[12:13], s[8:9], s[44:45]
	v_or_b32_e32 v15, s13, v5
	s_delay_alu instid0(VALU_DEP_1)
	v_cmpx_ne_u64_e32 0, v[14:15]
	s_xor_b32 s3, exec_lo, s2
	s_cbranch_execz .LBB26_15
; %bb.14:
	s_ashr_i32 s14, s13, 31
	s_mov_b32 s29, 0
	s_mov_b32 s15, s14
	v_dual_mov_b32 v9, v8 :: v_dual_mov_b32 v17, v14
	s_add_nc_u64 s[20:21], s[12:13], s[14:15]
	v_mov_b32_e32 v15, v14
	s_xor_b64 s[20:21], s[20:21], s[14:15]
	s_delay_alu instid0(VALU_DEP_2) | instskip(SKIP_4) | instid1(SALU_CYCLE_1)
	v_add_nc_u64_e32 v[12:13], v[4:5], v[8:9]
	s_cvt_f32_u32 s2, s20
	s_cvt_f32_u32 s15, s21
	s_sub_nc_u64 s[24:25], 0, s[20:21]
	v_dual_mov_b32 v19, v14 :: v_dual_mov_b32 v25, v14
	s_fmamk_f32 s2, s15, 0x4f800000, s2
	s_delay_alu instid0(VALU_DEP_2) | instskip(SKIP_3) | instid1(TRANS32_DEP_1)
	v_xor_b32_e32 v16, v12, v8
	v_xor_b32_e32 v18, v13, v8
	v_xor_b32_e32 v8, s14, v8
	v_s_rcp_f32 s2, s2
	s_mul_f32 s2, s2, 0x5f7ffffc
	s_delay_alu instid0(SALU_CYCLE_3) | instskip(NEXT) | instid1(SALU_CYCLE_3)
	s_mul_f32 s15, s2, 0x2f800000
	s_trunc_f32 s15, s15
	s_delay_alu instid0(SALU_CYCLE_3) | instskip(SKIP_1) | instid1(SALU_CYCLE_2)
	s_fmamk_f32 s2, s15, 0xcf800000, s2
	s_cvt_u32_f32 s23, s15
	s_cvt_u32_f32 s22, s2
	s_delay_alu instid0(SALU_CYCLE_3) | instskip(NEXT) | instid1(SALU_CYCLE_1)
	s_mul_u64 s[26:27], s[24:25], s[22:23]
	s_mul_hi_u32 s31, s22, s27
	s_mul_i32 s30, s22, s27
	s_mul_hi_u32 s28, s22, s26
	s_mul_i32 s15, s23, s26
	s_add_nc_u64 s[30:31], s[28:29], s[30:31]
	s_mul_hi_u32 s2, s23, s26
	s_mul_hi_u32 s33, s23, s27
	s_add_co_u32 s15, s30, s15
	s_add_co_ci_u32 s28, s31, s2
	s_mul_i32 s26, s23, s27
	s_add_co_ci_u32 s27, s33, 0
	s_delay_alu instid0(SALU_CYCLE_1) | instskip(NEXT) | instid1(SALU_CYCLE_1)
	s_add_nc_u64 s[26:27], s[28:29], s[26:27]
	s_add_co_u32 s22, s22, s26
	s_cselect_b32 s2, -1, 0
	s_delay_alu instid0(SALU_CYCLE_1) | instskip(SKIP_1) | instid1(SALU_CYCLE_1)
	s_cmp_lg_u32 s2, 0
	s_add_co_ci_u32 s23, s23, s27
	s_mul_u64 s[24:25], s[24:25], s[22:23]
	s_delay_alu instid0(SALU_CYCLE_1)
	s_mul_hi_u32 s27, s22, s25
	s_mul_i32 s26, s22, s25
	s_mul_hi_u32 s28, s22, s24
	s_mul_i32 s15, s23, s24
	s_add_nc_u64 s[26:27], s[28:29], s[26:27]
	s_mul_hi_u32 s2, s23, s24
	s_mul_hi_u32 s30, s23, s25
	s_add_co_u32 s15, s26, s15
	s_add_co_ci_u32 s28, s27, s2
	s_mul_i32 s24, s23, s25
	s_add_co_ci_u32 s25, s30, 0
	s_delay_alu instid0(SALU_CYCLE_1) | instskip(NEXT) | instid1(SALU_CYCLE_1)
	s_add_nc_u64 s[24:25], s[28:29], s[24:25]
	s_add_co_u32 s2, s22, s24
	s_cselect_b32 s15, -1, 0
	v_nop
	v_mul_hi_u32 v24, v16, s2
	s_cmp_lg_u32 s15, 0
	s_add_co_ci_u32 s28, s23, s25
	s_mov_b64 s[22:23], 0xffffffff
	v_mul_u64_e32 v[20:21], s[28:29], v[16:17]
	s_and_b64 s[22:23], s[2:3], s[22:23]
	v_mul_u64_e32 v[22:23], s[28:29], v[18:19]
	v_mul_u64_e32 v[12:13], s[22:23], v[18:19]
	s_delay_alu instid0(VALU_DEP_3) | instskip(NEXT) | instid1(VALU_DEP_1)
	v_add_nc_u64_e32 v[20:21], v[24:25], v[20:21]
	v_add_co_u32 v9, vcc_lo, v20, v12
	s_delay_alu instid0(VALU_DEP_2) | instskip(SKIP_1) | instid1(VALU_DEP_1)
	v_add_co_ci_u32_e32 v14, vcc_lo, v21, v13, vcc_lo
	v_add_co_ci_u32_e32 v23, vcc_lo, 0, v23, vcc_lo
	v_add_nc_u64_e32 v[12:13], v[14:15], v[22:23]
	s_delay_alu instid0(VALU_DEP_1) | instskip(NEXT) | instid1(VALU_DEP_1)
	v_mul_u64_e32 v[14:15], s[20:21], v[12:13]
	v_sub_nc_u32_e32 v9, v18, v15
	s_delay_alu instid0(VALU_DEP_2) | instskip(NEXT) | instid1(VALU_DEP_1)
	v_sub_co_u32 v14, vcc_lo, v16, v14
	v_sub_co_ci_u32_e64 v18, null, v18, v15, vcc_lo
	s_delay_alu instid0(VALU_DEP_3) | instskip(NEXT) | instid1(VALU_DEP_3)
	v_subrev_co_ci_u32_e64 v9, null, s21, v9, vcc_lo
	v_sub_co_u32 v16, s2, v14, s20
	s_delay_alu instid0(VALU_DEP_1) | instskip(NEXT) | instid1(VALU_DEP_2)
	v_subrev_co_ci_u32_e64 v9, null, 0, v9, s2
	v_cmp_le_u32_e32 vcc_lo, s20, v16
	v_cndmask_b32_e64 v15, 0, -1, vcc_lo
	s_delay_alu instid0(VALU_DEP_3)
	v_cmp_le_u32_e32 vcc_lo, s21, v9
	v_cndmask_b32_e64 v16, 0, -1, vcc_lo
	v_cmp_le_u32_e32 vcc_lo, s20, v14
	v_cndmask_b32_e64 v19, 0, -1, vcc_lo
	;; [unrolled: 2-line block ×3, first 2 shown]
	v_cmp_eq_u32_e32 vcc_lo, s21, v9
	v_cndmask_b32_e32 v9, v16, v15, vcc_lo
	v_cmp_eq_u32_e32 vcc_lo, s21, v18
	v_add_nc_u64_e32 v[14:15], 2, v[12:13]
	v_add_nc_u64_e32 v[16:17], 1, v[12:13]
	v_cndmask_b32_e32 v18, v20, v19, vcc_lo
	v_cmp_ne_u32_e32 vcc_lo, 0, v9
	s_delay_alu instid0(VALU_DEP_2) | instskip(NEXT) | instid1(VALU_DEP_4)
	v_cmp_ne_u32_e64 s2, 0, v18
	v_dual_cndmask_b32 v14, v16, v14 :: v_dual_cndmask_b32 v9, v17, v15
	s_delay_alu instid0(VALU_DEP_1) | instskip(SKIP_1) | instid1(VALU_DEP_2)
	v_dual_cndmask_b32 v12, v12, v14, s2 :: v_dual_cndmask_b32 v13, v13, v9, s2
	v_mov_b32_e32 v9, v8
	v_xor_b32_e32 v12, v12, v8
	s_delay_alu instid0(VALU_DEP_3) | instskip(NEXT) | instid1(VALU_DEP_1)
	v_xor_b32_e32 v13, v13, v8
	v_sub_nc_u64_e32 v[12:13], v[12:13], v[8:9]
.LBB26_15:
	s_and_not1_saveexec_b32 s2, s3
	s_cbranch_execz .LBB26_17
; %bb.16:
	v_cvt_f32_u32_e32 v8, s12
	s_sub_co_i32 s3, 0, s12
	s_delay_alu instid0(VALU_DEP_1) | instskip(SKIP_1) | instid1(TRANS32_DEP_1)
	v_rcp_iflag_f32_e32 v8, v8
	v_nop
	v_mul_f32_e32 v8, 0x4f7ffffe, v8
	s_delay_alu instid0(VALU_DEP_1) | instskip(NEXT) | instid1(VALU_DEP_1)
	v_cvt_u32_f32_e32 v8, v8
	v_mul_lo_u32 v9, s3, v8
	s_delay_alu instid0(VALU_DEP_1) | instskip(NEXT) | instid1(VALU_DEP_1)
	v_mul_hi_u32 v9, v8, v9
	v_add_nc_u32_e32 v8, v8, v9
	s_delay_alu instid0(VALU_DEP_1) | instskip(NEXT) | instid1(VALU_DEP_1)
	v_mul_hi_u32 v8, v4, v8
	v_mul_lo_u32 v9, v8, s12
	s_delay_alu instid0(VALU_DEP_1) | instskip(NEXT) | instid1(VALU_DEP_1)
	v_sub_nc_u32_e32 v9, v4, v9
	v_subrev_nc_u32_e32 v13, s12, v9
	v_cmp_le_u32_e32 vcc_lo, s12, v9
	s_delay_alu instid0(VALU_DEP_2) | instskip(NEXT) | instid1(VALU_DEP_1)
	v_dual_cndmask_b32 v9, v9, v13 :: v_dual_add_nc_u32 v12, 1, v8
	v_dual_cndmask_b32 v8, v8, v12 :: v_dual_mov_b32 v13, 0
	s_delay_alu instid0(VALU_DEP_2) | instskip(NEXT) | instid1(VALU_DEP_2)
	v_cmp_le_u32_e32 vcc_lo, s12, v9
	v_add_nc_u32_e32 v12, 1, v8
	s_delay_alu instid0(VALU_DEP_1)
	v_cndmask_b32_e32 v12, v8, v12, vcc_lo
.LBB26_17:
	s_or_b32 exec_lo, exec_lo, s2
	s_delay_alu instid0(VALU_DEP_1) | instskip(SKIP_2) | instid1(VALU_DEP_2)
	v_mul_u64_e32 v[8:9], s[12:13], v[12:13]
	s_mov_b32 s2, exec_lo
	v_mov_b32_e32 v14, 0
	v_sub_nc_u64_e32 v[8:9], v[4:5], v[8:9]
                                        ; implicit-def: $vgpr4_vgpr5
	s_delay_alu instid0(VALU_DEP_1) | instskip(NEXT) | instid1(VALU_DEP_1)
	v_or_b32_e32 v15, s9, v9
	v_cmpx_ne_u64_e32 0, v[14:15]
	s_xor_b32 s3, exec_lo, s2
	s_cbranch_execz .LBB26_19
; %bb.18:
	s_ashr_i32 s12, s9, 31
	s_mov_b32 s27, 0
	s_mov_b32 s13, s12
	v_dual_mov_b32 v19, v14 :: v_dual_ashrrev_i32 v4, 31, v9
	s_add_nc_u64 s[14:15], s[8:9], s[12:13]
	v_mov_b32_e32 v21, v14
	s_xor_b64 s[14:15], s[14:15], s[12:13]
	s_delay_alu instid0(VALU_DEP_2)
	v_mov_b32_e32 v5, v4
	s_cvt_f32_u32 s2, s14
	s_cvt_f32_u32 s13, s15
	s_sub_nc_u64 s[22:23], 0, s[14:15]
	v_mov_b32_e32 v27, v14
	v_add_nc_u64_e32 v[16:17], v[8:9], v[4:5]
	s_fmamk_f32 s2, s13, 0x4f800000, s2
	v_mov_b32_e32 v15, v14
	s_delay_alu instid0(SALU_CYCLE_2) | instskip(NEXT) | instid1(VALU_DEP_2)
	v_s_rcp_f32 s2, s2
	v_xor_b32_e32 v18, v16, v4
	s_delay_alu instid0(VALU_DEP_3) | instskip(SKIP_1) | instid1(TRANS32_DEP_1)
	v_xor_b32_e32 v20, v17, v4
	v_xor_b32_e32 v4, s12, v4
	s_mul_f32 s2, s2, 0x5f7ffffc
	s_delay_alu instid0(SALU_CYCLE_3) | instskip(NEXT) | instid1(SALU_CYCLE_3)
	s_mul_f32 s13, s2, 0x2f800000
	s_trunc_f32 s13, s13
	s_delay_alu instid0(SALU_CYCLE_3) | instskip(SKIP_1) | instid1(SALU_CYCLE_2)
	s_fmamk_f32 s2, s13, 0xcf800000, s2
	s_cvt_u32_f32 s21, s13
	s_cvt_u32_f32 s20, s2
	s_delay_alu instid0(SALU_CYCLE_3) | instskip(NEXT) | instid1(SALU_CYCLE_1)
	s_mul_u64 s[24:25], s[22:23], s[20:21]
	s_mul_hi_u32 s29, s20, s25
	s_mul_i32 s28, s20, s25
	s_mul_hi_u32 s26, s20, s24
	s_mul_i32 s13, s21, s24
	s_add_nc_u64 s[28:29], s[26:27], s[28:29]
	s_mul_hi_u32 s2, s21, s24
	s_mul_hi_u32 s30, s21, s25
	s_add_co_u32 s13, s28, s13
	s_add_co_ci_u32 s26, s29, s2
	s_mul_i32 s24, s21, s25
	s_add_co_ci_u32 s25, s30, 0
	s_delay_alu instid0(SALU_CYCLE_1) | instskip(NEXT) | instid1(SALU_CYCLE_1)
	s_add_nc_u64 s[24:25], s[26:27], s[24:25]
	s_add_co_u32 s20, s20, s24
	s_cselect_b32 s2, -1, 0
	s_delay_alu instid0(SALU_CYCLE_1) | instskip(SKIP_1) | instid1(SALU_CYCLE_1)
	s_cmp_lg_u32 s2, 0
	s_add_co_ci_u32 s21, s21, s25
	s_mul_u64 s[22:23], s[22:23], s[20:21]
	s_delay_alu instid0(SALU_CYCLE_1)
	s_mul_hi_u32 s25, s20, s23
	s_mul_i32 s24, s20, s23
	s_mul_hi_u32 s26, s20, s22
	s_mul_i32 s13, s21, s22
	s_add_nc_u64 s[24:25], s[26:27], s[24:25]
	s_mul_hi_u32 s2, s21, s22
	s_mul_hi_u32 s28, s21, s23
	s_add_co_u32 s13, s24, s13
	s_add_co_ci_u32 s26, s25, s2
	s_mul_i32 s22, s21, s23
	s_add_co_ci_u32 s23, s28, 0
	s_delay_alu instid0(SALU_CYCLE_1) | instskip(NEXT) | instid1(SALU_CYCLE_1)
	s_add_nc_u64 s[22:23], s[26:27], s[22:23]
	s_add_co_u32 s2, s20, s22
	s_cselect_b32 s13, -1, 0
	v_mul_hi_u32 v26, v18, s2
	s_cmp_lg_u32 s13, 0
	s_add_co_ci_u32 s26, s21, s23
	s_mov_b64 s[20:21], 0xffffffff
	v_mul_u64_e32 v[22:23], s[26:27], v[18:19]
	s_and_b64 s[20:21], s[2:3], s[20:21]
	v_mul_u64_e32 v[24:25], s[26:27], v[20:21]
	v_mul_u64_e32 v[16:17], s[20:21], v[20:21]
	s_delay_alu instid0(VALU_DEP_3) | instskip(NEXT) | instid1(VALU_DEP_1)
	v_add_nc_u64_e32 v[22:23], v[26:27], v[22:23]
	v_add_co_u32 v5, vcc_lo, v22, v16
	s_delay_alu instid0(VALU_DEP_2) | instskip(SKIP_1) | instid1(VALU_DEP_1)
	v_add_co_ci_u32_e32 v14, vcc_lo, v23, v17, vcc_lo
	v_add_co_ci_u32_e32 v25, vcc_lo, 0, v25, vcc_lo
	v_add_nc_u64_e32 v[14:15], v[14:15], v[24:25]
	s_delay_alu instid0(VALU_DEP_1) | instskip(NEXT) | instid1(VALU_DEP_1)
	v_mul_u64_e32 v[16:17], s[14:15], v[14:15]
	v_sub_nc_u32_e32 v5, v20, v17
	s_delay_alu instid0(VALU_DEP_2) | instskip(NEXT) | instid1(VALU_DEP_1)
	v_sub_co_u32 v16, vcc_lo, v18, v16
	v_sub_co_ci_u32_e64 v20, null, v20, v17, vcc_lo
	s_delay_alu instid0(VALU_DEP_3) | instskip(NEXT) | instid1(VALU_DEP_3)
	v_subrev_co_ci_u32_e64 v5, null, s15, v5, vcc_lo
	v_sub_co_u32 v18, s2, v16, s14
	s_delay_alu instid0(VALU_DEP_1) | instskip(NEXT) | instid1(VALU_DEP_2)
	v_subrev_co_ci_u32_e64 v5, null, 0, v5, s2
	v_cmp_le_u32_e32 vcc_lo, s14, v18
	v_cndmask_b32_e64 v17, 0, -1, vcc_lo
	s_delay_alu instid0(VALU_DEP_3)
	v_cmp_le_u32_e32 vcc_lo, s15, v5
	v_cndmask_b32_e64 v18, 0, -1, vcc_lo
	v_cmp_le_u32_e32 vcc_lo, s14, v16
	v_cndmask_b32_e64 v21, 0, -1, vcc_lo
	;; [unrolled: 2-line block ×3, first 2 shown]
	v_cmp_eq_u32_e32 vcc_lo, s15, v5
	v_cndmask_b32_e32 v5, v18, v17, vcc_lo
	v_cmp_eq_u32_e32 vcc_lo, s15, v20
	v_add_nc_u64_e32 v[16:17], 2, v[14:15]
	v_add_nc_u64_e32 v[18:19], 1, v[14:15]
	v_cndmask_b32_e32 v20, v22, v21, vcc_lo
	v_cmp_ne_u32_e32 vcc_lo, 0, v5
	s_delay_alu instid0(VALU_DEP_2) | instskip(NEXT) | instid1(VALU_DEP_4)
	v_cmp_ne_u32_e64 s2, 0, v20
	v_dual_cndmask_b32 v16, v18, v16 :: v_dual_cndmask_b32 v5, v19, v17
	s_delay_alu instid0(VALU_DEP_1) | instskip(NEXT) | instid1(VALU_DEP_1)
	v_dual_cndmask_b32 v14, v14, v16, s2 :: v_dual_cndmask_b32 v15, v15, v5, s2
	v_dual_mov_b32 v5, v4 :: v_dual_bitop2_b32 v14, v14, v4 bitop3:0x14
	s_delay_alu instid0(VALU_DEP_2) | instskip(NEXT) | instid1(VALU_DEP_1)
	v_xor_b32_e32 v15, v15, v4
	v_sub_nc_u64_e32 v[4:5], v[14:15], v[4:5]
.LBB26_19:
	s_and_not1_saveexec_b32 s2, s3
	s_cbranch_execz .LBB26_21
; %bb.20:
	v_cvt_f32_u32_e32 v4, s8
	s_sub_co_i32 s3, 0, s8
	s_delay_alu instid0(VALU_DEP_1) | instskip(SKIP_1) | instid1(TRANS32_DEP_1)
	v_rcp_iflag_f32_e32 v4, v4
	v_nop
	v_mul_f32_e32 v4, 0x4f7ffffe, v4
	s_delay_alu instid0(VALU_DEP_1) | instskip(NEXT) | instid1(VALU_DEP_1)
	v_cvt_u32_f32_e32 v4, v4
	v_mul_lo_u32 v5, s3, v4
	s_delay_alu instid0(VALU_DEP_1) | instskip(NEXT) | instid1(VALU_DEP_1)
	v_mul_hi_u32 v5, v4, v5
	v_add_nc_u32_e32 v4, v4, v5
	s_delay_alu instid0(VALU_DEP_1) | instskip(NEXT) | instid1(VALU_DEP_1)
	v_mul_hi_u32 v4, v8, v4
	v_mul_lo_u32 v5, v4, s8
	s_delay_alu instid0(VALU_DEP_1) | instskip(NEXT) | instid1(VALU_DEP_1)
	v_dual_add_nc_u32 v14, 1, v4 :: v_dual_sub_nc_u32 v5, v8, v5
	v_subrev_nc_u32_e32 v15, s8, v5
	v_cmp_le_u32_e32 vcc_lo, s8, v5
	s_delay_alu instid0(VALU_DEP_2) | instskip(NEXT) | instid1(VALU_DEP_1)
	v_dual_cndmask_b32 v5, v5, v15 :: v_dual_cndmask_b32 v4, v4, v14
	v_cmp_le_u32_e32 vcc_lo, s8, v5
	s_delay_alu instid0(VALU_DEP_2) | instskip(NEXT) | instid1(VALU_DEP_1)
	v_dual_mov_b32 v5, 0 :: v_dual_add_nc_u32 v14, 1, v4
	v_cndmask_b32_e32 v4, v4, v14, vcc_lo
.LBB26_21:
	s_or_b32 exec_lo, exec_lo, s2
	s_delay_alu instid0(VALU_DEP_1) | instskip(SKIP_1) | instid1(VALU_DEP_1)
	v_mul_u64_e32 v[14:15], s[8:9], v[4:5]
                                        ; implicit-def: $vgpr16_vgpr17
	s_mov_b32 s2, exec_lo
	v_sub_nc_u64_e32 v[8:9], v[8:9], v[14:15]
	s_delay_alu instid0(VALU_DEP_1) | instskip(NEXT) | instid1(VALU_DEP_1)
	v_dual_mov_b32 v14, 0 :: v_dual_bitop2_b32 v15, s41, v9 bitop3:0x54
	v_cmpx_ne_u64_e32 0, v[14:15]
	s_xor_b32 s3, exec_lo, s2
	s_cbranch_execz .LBB26_23
; %bb.22:
	s_ashr_i32 s8, s41, 31
	s_mov_b32 s25, 0
	s_mov_b32 s9, s8
	v_dual_mov_b32 v21, v14 :: v_dual_ashrrev_i32 v16, 31, v9
	s_add_nc_u64 s[12:13], s[40:41], s[8:9]
	v_dual_mov_b32 v29, v14 :: v_dual_mov_b32 v15, v14
	s_xor_b64 s[12:13], s[12:13], s[8:9]
	s_delay_alu instid0(VALU_DEP_2) | instskip(SKIP_3) | instid1(VALU_DEP_1)
	v_mov_b32_e32 v17, v16
	s_cvt_f32_u32 s2, s12
	s_cvt_f32_u32 s9, s13
	s_sub_nc_u64 s[20:21], 0, s[12:13]
	v_add_nc_u64_e32 v[18:19], v[8:9], v[16:17]
	s_delay_alu instid0(SALU_CYCLE_1) | instskip(SKIP_1) | instid1(SALU_CYCLE_2)
	s_fmamk_f32 s2, s9, 0x4f800000, s2
	v_mov_b32_e32 v23, v14
	v_s_rcp_f32 s2, s2
	s_delay_alu instid0(VALU_DEP_2) | instskip(NEXT) | instid1(VALU_DEP_3)
	v_xor_b32_e32 v20, v18, v16
	v_xor_b32_e32 v22, v19, v16
	;; [unrolled: 1-line block ×3, first 2 shown]
	s_delay_alu instid0(TRANS32_DEP_1) | instskip(NEXT) | instid1(SALU_CYCLE_3)
	s_mul_f32 s2, s2, 0x5f7ffffc
	s_mul_f32 s9, s2, 0x2f800000
	s_delay_alu instid0(SALU_CYCLE_3) | instskip(NEXT) | instid1(SALU_CYCLE_3)
	s_trunc_f32 s9, s9
	s_fmamk_f32 s2, s9, 0xcf800000, s2
	s_cvt_u32_f32 s15, s9
	s_delay_alu instid0(SALU_CYCLE_2) | instskip(NEXT) | instid1(SALU_CYCLE_3)
	s_cvt_u32_f32 s14, s2
	s_mul_u64 s[22:23], s[20:21], s[14:15]
	s_delay_alu instid0(SALU_CYCLE_1)
	s_mul_hi_u32 s27, s14, s23
	s_mul_i32 s26, s14, s23
	s_mul_hi_u32 s24, s14, s22
	s_mul_i32 s9, s15, s22
	s_add_nc_u64 s[26:27], s[24:25], s[26:27]
	s_mul_hi_u32 s2, s15, s22
	s_mul_hi_u32 s28, s15, s23
	s_add_co_u32 s9, s26, s9
	s_add_co_ci_u32 s24, s27, s2
	s_mul_i32 s22, s15, s23
	s_add_co_ci_u32 s23, s28, 0
	s_delay_alu instid0(SALU_CYCLE_1) | instskip(NEXT) | instid1(SALU_CYCLE_1)
	s_add_nc_u64 s[22:23], s[24:25], s[22:23]
	s_add_co_u32 s14, s14, s22
	s_cselect_b32 s2, -1, 0
	s_delay_alu instid0(SALU_CYCLE_1) | instskip(SKIP_1) | instid1(SALU_CYCLE_1)
	s_cmp_lg_u32 s2, 0
	s_add_co_ci_u32 s15, s15, s23
	s_mul_u64 s[20:21], s[20:21], s[14:15]
	s_delay_alu instid0(SALU_CYCLE_1)
	s_mul_hi_u32 s23, s14, s21
	s_mul_i32 s22, s14, s21
	s_mul_hi_u32 s24, s14, s20
	s_mul_i32 s9, s15, s20
	s_add_nc_u64 s[22:23], s[24:25], s[22:23]
	s_mul_hi_u32 s2, s15, s20
	s_mul_hi_u32 s26, s15, s21
	s_add_co_u32 s9, s22, s9
	s_add_co_ci_u32 s24, s23, s2
	s_mul_i32 s20, s15, s21
	s_add_co_ci_u32 s21, s26, 0
	s_delay_alu instid0(SALU_CYCLE_1) | instskip(NEXT) | instid1(SALU_CYCLE_1)
	s_add_nc_u64 s[20:21], s[24:25], s[20:21]
	s_add_co_u32 s2, s14, s20
	s_cselect_b32 s9, -1, 0
	v_mul_hi_u32 v28, v20, s2
	s_cmp_lg_u32 s9, 0
	s_add_co_ci_u32 s24, s15, s21
	s_mov_b64 s[14:15], 0xffffffff
	v_mul_u64_e32 v[24:25], s[24:25], v[20:21]
	s_and_b64 s[14:15], s[2:3], s[14:15]
	v_mul_u64_e32 v[26:27], s[24:25], v[22:23]
	v_mul_u64_e32 v[18:19], s[14:15], v[22:23]
	s_delay_alu instid0(VALU_DEP_3) | instskip(NEXT) | instid1(VALU_DEP_1)
	v_add_nc_u64_e32 v[24:25], v[28:29], v[24:25]
	v_add_co_u32 v14, vcc_lo, v24, v18
	s_delay_alu instid0(VALU_DEP_2) | instskip(SKIP_1) | instid1(VALU_DEP_1)
	v_add_co_ci_u32_e32 v14, vcc_lo, v25, v19, vcc_lo
	v_add_co_ci_u32_e32 v27, vcc_lo, 0, v27, vcc_lo
	v_add_nc_u64_e32 v[14:15], v[14:15], v[26:27]
	s_delay_alu instid0(VALU_DEP_1) | instskip(NEXT) | instid1(VALU_DEP_1)
	v_mul_u64_e32 v[18:19], s[12:13], v[14:15]
	v_sub_nc_u32_e32 v17, v22, v19
	s_delay_alu instid0(VALU_DEP_2) | instskip(NEXT) | instid1(VALU_DEP_1)
	v_sub_co_u32 v18, vcc_lo, v20, v18
	v_sub_co_ci_u32_e64 v22, null, v22, v19, vcc_lo
	s_delay_alu instid0(VALU_DEP_3) | instskip(NEXT) | instid1(VALU_DEP_3)
	v_subrev_co_ci_u32_e64 v17, null, s13, v17, vcc_lo
	v_sub_co_u32 v20, s2, v18, s12
	s_delay_alu instid0(VALU_DEP_1) | instskip(NEXT) | instid1(VALU_DEP_2)
	v_subrev_co_ci_u32_e64 v17, null, 0, v17, s2
	v_cmp_le_u32_e32 vcc_lo, s12, v20
	v_cndmask_b32_e64 v19, 0, -1, vcc_lo
	s_delay_alu instid0(VALU_DEP_3)
	v_cmp_le_u32_e32 vcc_lo, s13, v17
	v_cndmask_b32_e64 v20, 0, -1, vcc_lo
	v_cmp_le_u32_e32 vcc_lo, s12, v18
	v_cndmask_b32_e64 v23, 0, -1, vcc_lo
	;; [unrolled: 2-line block ×3, first 2 shown]
	v_cmp_eq_u32_e32 vcc_lo, s13, v17
	v_cndmask_b32_e32 v17, v20, v19, vcc_lo
	v_cmp_eq_u32_e32 vcc_lo, s13, v22
	v_add_nc_u64_e32 v[18:19], 2, v[14:15]
	v_add_nc_u64_e32 v[20:21], 1, v[14:15]
	v_cndmask_b32_e32 v22, v24, v23, vcc_lo
	v_cmp_ne_u32_e32 vcc_lo, 0, v17
	s_delay_alu instid0(VALU_DEP_2) | instskip(NEXT) | instid1(VALU_DEP_4)
	v_cmp_ne_u32_e64 s2, 0, v22
	v_dual_cndmask_b32 v18, v20, v18 :: v_dual_cndmask_b32 v17, v21, v19
	s_delay_alu instid0(VALU_DEP_1) | instskip(NEXT) | instid1(VALU_DEP_1)
	v_dual_cndmask_b32 v14, v14, v18, s2 :: v_dual_cndmask_b32 v15, v15, v17, s2
	v_dual_mov_b32 v17, v16 :: v_dual_bitop2_b32 v14, v14, v16 bitop3:0x14
	s_delay_alu instid0(VALU_DEP_2) | instskip(NEXT) | instid1(VALU_DEP_1)
	v_xor_b32_e32 v15, v15, v16
	v_sub_nc_u64_e32 v[16:17], v[14:15], v[16:17]
.LBB26_23:
	s_and_not1_saveexec_b32 s2, s3
	s_cbranch_execz .LBB26_25
; %bb.24:
	v_cvt_f32_u32_e32 v14, s40
	s_sub_co_i32 s3, 0, s40
	s_delay_alu instid0(VALU_DEP_1) | instskip(SKIP_1) | instid1(TRANS32_DEP_1)
	v_rcp_iflag_f32_e32 v14, v14
	v_nop
	v_mul_f32_e32 v14, 0x4f7ffffe, v14
	s_delay_alu instid0(VALU_DEP_1) | instskip(NEXT) | instid1(VALU_DEP_1)
	v_cvt_u32_f32_e32 v14, v14
	v_mul_lo_u32 v15, s3, v14
	s_delay_alu instid0(VALU_DEP_1) | instskip(NEXT) | instid1(VALU_DEP_1)
	v_mul_hi_u32 v15, v14, v15
	v_add_nc_u32_e32 v14, v14, v15
	s_delay_alu instid0(VALU_DEP_1) | instskip(NEXT) | instid1(VALU_DEP_1)
	v_mul_hi_u32 v14, v8, v14
	v_mul_lo_u32 v15, v14, s40
	s_delay_alu instid0(VALU_DEP_1) | instskip(NEXT) | instid1(VALU_DEP_1)
	v_dual_add_nc_u32 v16, 1, v14 :: v_dual_sub_nc_u32 v15, v8, v15
	v_subrev_nc_u32_e32 v17, s40, v15
	v_cmp_le_u32_e32 vcc_lo, s40, v15
	s_delay_alu instid0(VALU_DEP_2) | instskip(NEXT) | instid1(VALU_DEP_4)
	v_dual_cndmask_b32 v15, v15, v17, vcc_lo :: v_dual_mov_b32 v17, 0
	v_cndmask_b32_e32 v14, v14, v16, vcc_lo
	s_delay_alu instid0(VALU_DEP_2) | instskip(NEXT) | instid1(VALU_DEP_2)
	v_cmp_le_u32_e32 vcc_lo, s40, v15
	v_add_nc_u32_e32 v16, 1, v14
	s_delay_alu instid0(VALU_DEP_1)
	v_cndmask_b32_e32 v16, v14, v16, vcc_lo
.LBB26_25:
	s_or_b32 exec_lo, exec_lo, s2
	v_mul_u64_e32 v[14:15], s[10:11], v[10:11]
	s_load_b64 s[0:1], s[0:1], 0x80
	s_delay_alu instid0(VALU_DEP_1) | instskip(NEXT) | instid1(VALU_DEP_1)
	v_sub_nc_u64_e32 v[6:7], v[6:7], v[14:15]
	v_mad_nc_u64_u32 v[14:15], v6, s16, s[4:5]
	s_delay_alu instid0(VALU_DEP_1) | instskip(NEXT) | instid1(VALU_DEP_1)
	v_mad_u32 v7, v7, s16, v15
	v_mad_u32 v15, v6, s17, v7
	s_delay_alu instid0(VALU_DEP_1) | instskip(NEXT) | instid1(VALU_DEP_1)
	v_mad_nc_u64_u32 v[6:7], v10, s18, v[14:15]
	v_mad_u32 v7, v11, s18, v7
	s_delay_alu instid0(VALU_DEP_1) | instskip(NEXT) | instid1(VALU_DEP_1)
	v_mad_u32 v7, v10, s19, v7
	v_mad_nc_u64_u32 v[6:7], v2, s36, v[6:7]
	s_delay_alu instid0(VALU_DEP_1) | instskip(NEXT) | instid1(VALU_DEP_1)
	v_mad_u32 v3, v3, s36, v7
	v_mad_u32 v7, v2, s37, v3
	s_delay_alu instid0(VALU_DEP_1) | instskip(NEXT) | instid1(VALU_DEP_1)
	v_mad_nc_u64_u32 v[2:3], v0, s38, v[6:7]
	v_mad_u32 v1, v1, s38, v3
	s_delay_alu instid0(VALU_DEP_1) | instskip(SKIP_4) | instid1(VALU_DEP_1)
	v_mad_u32 v3, v0, s39, v1
	v_mul_u64_e32 v[0:1], s[40:41], v[16:17]
	global_load_u16 v6, v[2:3], off
	v_sub_nc_u64_e32 v[0:1], v[8:9], v[0:1]
	s_wait_xcnt 0x0
	v_mad_nc_u64_u32 v[2:3], v0, s46, s[6:7]
	s_delay_alu instid0(VALU_DEP_1) | instskip(NEXT) | instid1(VALU_DEP_1)
	v_mad_u32 v1, v1, s46, v3
	v_mad_u32 v3, v0, s47, v1
	s_delay_alu instid0(VALU_DEP_1) | instskip(NEXT) | instid1(VALU_DEP_1)
	v_mad_nc_u64_u32 v[0:1], v16, s48, v[2:3]
	v_mad_u32 v1, v17, s48, v1
	s_delay_alu instid0(VALU_DEP_1) | instskip(NEXT) | instid1(VALU_DEP_1)
	v_mad_u32 v1, v16, s49, v1
	v_mad_nc_u64_u32 v[0:1], v4, s50, v[0:1]
	s_delay_alu instid0(VALU_DEP_1) | instskip(NEXT) | instid1(VALU_DEP_1)
	v_mad_u32 v1, v5, s50, v1
	v_mad_u32 v1, v4, s51, v1
	s_wait_kmcnt 0x0
	s_delay_alu instid0(VALU_DEP_1) | instskip(NEXT) | instid1(VALU_DEP_1)
	v_mad_nc_u64_u32 v[0:1], v12, s0, v[0:1]
	v_mad_u32 v1, v13, s0, v1
	s_delay_alu instid0(VALU_DEP_1) | instskip(SKIP_2) | instid1(VALU_DEP_1)
	v_mad_u32 v1, v12, s1, v1
	s_wait_loadcnt 0x0
	v_lshlrev_b32_e32 v2, 16, v6
	v_cvt_f16_f32_e32 v2, v2
	global_store_b16 v[0:1], v2, off
.LBB26_26:
	s_endpgm
	.section	.rodata,"a",@progbits
	.p2align	6, 0x0
	.amdhsa_kernel _ZL10cpy_scalarIXadL_ZL12cpy_1_scalarI14__hip_bfloat166__halfEvPKcPcEEEvS4_S5_lllllllllllllll
		.amdhsa_group_segment_fixed_size 0
		.amdhsa_private_segment_fixed_size 0
		.amdhsa_kernarg_size 392
		.amdhsa_user_sgpr_count 2
		.amdhsa_user_sgpr_dispatch_ptr 0
		.amdhsa_user_sgpr_queue_ptr 0
		.amdhsa_user_sgpr_kernarg_segment_ptr 1
		.amdhsa_user_sgpr_dispatch_id 0
		.amdhsa_user_sgpr_kernarg_preload_length 0
		.amdhsa_user_sgpr_kernarg_preload_offset 0
		.amdhsa_user_sgpr_private_segment_size 0
		.amdhsa_wavefront_size32 1
		.amdhsa_uses_dynamic_stack 0
		.amdhsa_enable_private_segment 0
		.amdhsa_system_sgpr_workgroup_id_x 1
		.amdhsa_system_sgpr_workgroup_id_y 0
		.amdhsa_system_sgpr_workgroup_id_z 0
		.amdhsa_system_sgpr_workgroup_info 0
		.amdhsa_system_vgpr_workitem_id 0
		.amdhsa_next_free_vgpr 30
		.amdhsa_next_free_sgpr 52
		.amdhsa_named_barrier_count 0
		.amdhsa_reserve_vcc 1
		.amdhsa_float_round_mode_32 0
		.amdhsa_float_round_mode_16_64 0
		.amdhsa_float_denorm_mode_32 3
		.amdhsa_float_denorm_mode_16_64 3
		.amdhsa_fp16_overflow 0
		.amdhsa_memory_ordered 1
		.amdhsa_forward_progress 1
		.amdhsa_inst_pref_size 40
		.amdhsa_round_robin_scheduling 0
		.amdhsa_exception_fp_ieee_invalid_op 0
		.amdhsa_exception_fp_denorm_src 0
		.amdhsa_exception_fp_ieee_div_zero 0
		.amdhsa_exception_fp_ieee_overflow 0
		.amdhsa_exception_fp_ieee_underflow 0
		.amdhsa_exception_fp_ieee_inexact 0
		.amdhsa_exception_int_div_zero 0
	.end_amdhsa_kernel
	.section	.text._ZL10cpy_scalarIXadL_ZL12cpy_1_scalarI14__hip_bfloat166__halfEvPKcPcEEEvS4_S5_lllllllllllllll,"axG",@progbits,_ZL10cpy_scalarIXadL_ZL12cpy_1_scalarI14__hip_bfloat166__halfEvPKcPcEEEvS4_S5_lllllllllllllll,comdat
.Lfunc_end26:
	.size	_ZL10cpy_scalarIXadL_ZL12cpy_1_scalarI14__hip_bfloat166__halfEvPKcPcEEEvS4_S5_lllllllllllllll, .Lfunc_end26-_ZL10cpy_scalarIXadL_ZL12cpy_1_scalarI14__hip_bfloat166__halfEvPKcPcEEEvS4_S5_lllllllllllllll
                                        ; -- End function
	.set _ZL10cpy_scalarIXadL_ZL12cpy_1_scalarI14__hip_bfloat166__halfEvPKcPcEEEvS4_S5_lllllllllllllll.num_vgpr, 30
	.set _ZL10cpy_scalarIXadL_ZL12cpy_1_scalarI14__hip_bfloat166__halfEvPKcPcEEEvS4_S5_lllllllllllllll.num_agpr, 0
	.set _ZL10cpy_scalarIXadL_ZL12cpy_1_scalarI14__hip_bfloat166__halfEvPKcPcEEEvS4_S5_lllllllllllllll.numbered_sgpr, 52
	.set _ZL10cpy_scalarIXadL_ZL12cpy_1_scalarI14__hip_bfloat166__halfEvPKcPcEEEvS4_S5_lllllllllllllll.num_named_barrier, 0
	.set _ZL10cpy_scalarIXadL_ZL12cpy_1_scalarI14__hip_bfloat166__halfEvPKcPcEEEvS4_S5_lllllllllllllll.private_seg_size, 0
	.set _ZL10cpy_scalarIXadL_ZL12cpy_1_scalarI14__hip_bfloat166__halfEvPKcPcEEEvS4_S5_lllllllllllllll.uses_vcc, 1
	.set _ZL10cpy_scalarIXadL_ZL12cpy_1_scalarI14__hip_bfloat166__halfEvPKcPcEEEvS4_S5_lllllllllllllll.uses_flat_scratch, 0
	.set _ZL10cpy_scalarIXadL_ZL12cpy_1_scalarI14__hip_bfloat166__halfEvPKcPcEEEvS4_S5_lllllllllllllll.has_dyn_sized_stack, 0
	.set _ZL10cpy_scalarIXadL_ZL12cpy_1_scalarI14__hip_bfloat166__halfEvPKcPcEEEvS4_S5_lllllllllllllll.has_recursion, 0
	.set _ZL10cpy_scalarIXadL_ZL12cpy_1_scalarI14__hip_bfloat166__halfEvPKcPcEEEvS4_S5_lllllllllllllll.has_indirect_call, 0
	.section	.AMDGPU.csdata,"",@progbits
; Kernel info:
; codeLenInByte = 5012
; TotalNumSgprs: 54
; NumVgprs: 30
; ScratchSize: 0
; MemoryBound: 0
; FloatMode: 240
; IeeeMode: 1
; LDSByteSize: 0 bytes/workgroup (compile time only)
; SGPRBlocks: 0
; VGPRBlocks: 1
; NumSGPRsForWavesPerEU: 54
; NumVGPRsForWavesPerEU: 30
; NamedBarCnt: 0
; Occupancy: 16
; WaveLimiterHint : 0
; COMPUTE_PGM_RSRC2:SCRATCH_EN: 0
; COMPUTE_PGM_RSRC2:USER_SGPR: 2
; COMPUTE_PGM_RSRC2:TRAP_HANDLER: 0
; COMPUTE_PGM_RSRC2:TGID_X_EN: 1
; COMPUTE_PGM_RSRC2:TGID_Y_EN: 0
; COMPUTE_PGM_RSRC2:TGID_Z_EN: 0
; COMPUTE_PGM_RSRC2:TIDIG_COMP_CNT: 0
	.section	.text._ZL21cpy_scalar_contiguousI14__hip_bfloat16fEvPKcPcl,"axG",@progbits,_ZL21cpy_scalar_contiguousI14__hip_bfloat16fEvPKcPcl,comdat
	.globl	_ZL21cpy_scalar_contiguousI14__hip_bfloat16fEvPKcPcl ; -- Begin function _ZL21cpy_scalar_contiguousI14__hip_bfloat16fEvPKcPcl
	.p2align	8
	.type	_ZL21cpy_scalar_contiguousI14__hip_bfloat16fEvPKcPcl,@function
_ZL21cpy_scalar_contiguousI14__hip_bfloat16fEvPKcPcl: ; @_ZL21cpy_scalar_contiguousI14__hip_bfloat16fEvPKcPcl
; %bb.0:
	s_clause 0x1
	s_load_b32 s4, s[0:1], 0x24
	s_load_b64 s[2:3], s[0:1], 0x10
	s_bfe_u32 s5, ttmp6, 0x4000c
	s_and_b32 s6, ttmp6, 15
	s_add_co_i32 s5, s5, 1
	s_getreg_b32 s7, hwreg(HW_REG_IB_STS2, 6, 4)
	s_mul_i32 s5, ttmp9, s5
	v_mov_b32_e32 v1, 0
	s_add_co_i32 s6, s6, s5
	s_wait_kmcnt 0x0
	s_and_b32 s4, s4, 0xffff
	s_cmp_eq_u32 s7, 0
	s_cselect_b32 s5, ttmp9, s6
	s_delay_alu instid0(SALU_CYCLE_1) | instskip(NEXT) | instid1(VALU_DEP_1)
	v_mad_nc_u64_u32 v[0:1], s4, s5, v[0:1]
	v_cmp_gt_i64_e32 vcc_lo, s[2:3], v[0:1]
	s_and_saveexec_b32 s2, vcc_lo
	s_cbranch_execz .LBB27_2
; %bb.1:
	s_load_b128 s[0:3], s[0:1], 0x0
	s_wait_kmcnt 0x0
	v_lshl_add_u64 v[2:3], v[0:1], 1, s[0:1]
	v_lshl_add_u64 v[0:1], v[0:1], 2, s[2:3]
	global_load_u16 v2, v[2:3], off
	s_wait_loadcnt 0x0
	v_lshlrev_b32_e32 v2, 16, v2
	global_store_b32 v[0:1], v2, off
.LBB27_2:
	s_endpgm
	.section	.rodata,"a",@progbits
	.p2align	6, 0x0
	.amdhsa_kernel _ZL21cpy_scalar_contiguousI14__hip_bfloat16fEvPKcPcl
		.amdhsa_group_segment_fixed_size 0
		.amdhsa_private_segment_fixed_size 0
		.amdhsa_kernarg_size 280
		.amdhsa_user_sgpr_count 2
		.amdhsa_user_sgpr_dispatch_ptr 0
		.amdhsa_user_sgpr_queue_ptr 0
		.amdhsa_user_sgpr_kernarg_segment_ptr 1
		.amdhsa_user_sgpr_dispatch_id 0
		.amdhsa_user_sgpr_kernarg_preload_length 0
		.amdhsa_user_sgpr_kernarg_preload_offset 0
		.amdhsa_user_sgpr_private_segment_size 0
		.amdhsa_wavefront_size32 1
		.amdhsa_uses_dynamic_stack 0
		.amdhsa_enable_private_segment 0
		.amdhsa_system_sgpr_workgroup_id_x 1
		.amdhsa_system_sgpr_workgroup_id_y 0
		.amdhsa_system_sgpr_workgroup_id_z 0
		.amdhsa_system_sgpr_workgroup_info 0
		.amdhsa_system_vgpr_workitem_id 0
		.amdhsa_next_free_vgpr 4
		.amdhsa_next_free_sgpr 8
		.amdhsa_named_barrier_count 0
		.amdhsa_reserve_vcc 1
		.amdhsa_float_round_mode_32 0
		.amdhsa_float_round_mode_16_64 0
		.amdhsa_float_denorm_mode_32 3
		.amdhsa_float_denorm_mode_16_64 3
		.amdhsa_fp16_overflow 0
		.amdhsa_memory_ordered 1
		.amdhsa_forward_progress 1
		.amdhsa_inst_pref_size 2
		.amdhsa_round_robin_scheduling 0
		.amdhsa_exception_fp_ieee_invalid_op 0
		.amdhsa_exception_fp_denorm_src 0
		.amdhsa_exception_fp_ieee_div_zero 0
		.amdhsa_exception_fp_ieee_overflow 0
		.amdhsa_exception_fp_ieee_underflow 0
		.amdhsa_exception_fp_ieee_inexact 0
		.amdhsa_exception_int_div_zero 0
	.end_amdhsa_kernel
	.section	.text._ZL21cpy_scalar_contiguousI14__hip_bfloat16fEvPKcPcl,"axG",@progbits,_ZL21cpy_scalar_contiguousI14__hip_bfloat16fEvPKcPcl,comdat
.Lfunc_end27:
	.size	_ZL21cpy_scalar_contiguousI14__hip_bfloat16fEvPKcPcl, .Lfunc_end27-_ZL21cpy_scalar_contiguousI14__hip_bfloat16fEvPKcPcl
                                        ; -- End function
	.set _ZL21cpy_scalar_contiguousI14__hip_bfloat16fEvPKcPcl.num_vgpr, 4
	.set _ZL21cpy_scalar_contiguousI14__hip_bfloat16fEvPKcPcl.num_agpr, 0
	.set _ZL21cpy_scalar_contiguousI14__hip_bfloat16fEvPKcPcl.numbered_sgpr, 8
	.set _ZL21cpy_scalar_contiguousI14__hip_bfloat16fEvPKcPcl.num_named_barrier, 0
	.set _ZL21cpy_scalar_contiguousI14__hip_bfloat16fEvPKcPcl.private_seg_size, 0
	.set _ZL21cpy_scalar_contiguousI14__hip_bfloat16fEvPKcPcl.uses_vcc, 1
	.set _ZL21cpy_scalar_contiguousI14__hip_bfloat16fEvPKcPcl.uses_flat_scratch, 0
	.set _ZL21cpy_scalar_contiguousI14__hip_bfloat16fEvPKcPcl.has_dyn_sized_stack, 0
	.set _ZL21cpy_scalar_contiguousI14__hip_bfloat16fEvPKcPcl.has_recursion, 0
	.set _ZL21cpy_scalar_contiguousI14__hip_bfloat16fEvPKcPcl.has_indirect_call, 0
	.section	.AMDGPU.csdata,"",@progbits
; Kernel info:
; codeLenInByte = 160
; TotalNumSgprs: 10
; NumVgprs: 4
; ScratchSize: 0
; MemoryBound: 0
; FloatMode: 240
; IeeeMode: 1
; LDSByteSize: 0 bytes/workgroup (compile time only)
; SGPRBlocks: 0
; VGPRBlocks: 0
; NumSGPRsForWavesPerEU: 10
; NumVGPRsForWavesPerEU: 4
; NamedBarCnt: 0
; Occupancy: 16
; WaveLimiterHint : 0
; COMPUTE_PGM_RSRC2:SCRATCH_EN: 0
; COMPUTE_PGM_RSRC2:USER_SGPR: 2
; COMPUTE_PGM_RSRC2:TRAP_HANDLER: 0
; COMPUTE_PGM_RSRC2:TGID_X_EN: 1
; COMPUTE_PGM_RSRC2:TGID_Y_EN: 0
; COMPUTE_PGM_RSRC2:TGID_Z_EN: 0
; COMPUTE_PGM_RSRC2:TIDIG_COMP_CNT: 0
	.section	.text._ZL10cpy_scalarIXadL_ZL12cpy_1_scalarI14__hip_bfloat16fEvPKcPcEEEvS3_S4_lllllllllllllll,"axG",@progbits,_ZL10cpy_scalarIXadL_ZL12cpy_1_scalarI14__hip_bfloat16fEvPKcPcEEEvS3_S4_lllllllllllllll,comdat
	.globl	_ZL10cpy_scalarIXadL_ZL12cpy_1_scalarI14__hip_bfloat16fEvPKcPcEEEvS3_S4_lllllllllllllll ; -- Begin function _ZL10cpy_scalarIXadL_ZL12cpy_1_scalarI14__hip_bfloat16fEvPKcPcEEEvS3_S4_lllllllllllllll
	.p2align	8
	.type	_ZL10cpy_scalarIXadL_ZL12cpy_1_scalarI14__hip_bfloat16fEvPKcPcEEEvS3_S4_lllllllllllllll,@function
_ZL10cpy_scalarIXadL_ZL12cpy_1_scalarI14__hip_bfloat16fEvPKcPcEEEvS3_S4_lllllllllllllll: ; @_ZL10cpy_scalarIXadL_ZL12cpy_1_scalarI14__hip_bfloat16fEvPKcPcEEEvS3_S4_lllllllllllllll
; %bb.0:
	s_load_b32 s2, s[0:1], 0x94
	s_bfe_u32 s4, ttmp6, 0x4000c
	v_mov_b32_e32 v2, 0
	s_add_co_i32 s21, s4, 1
	s_load_b512 s[4:19], s[0:1], 0x0
	s_and_b32 s3, ttmp6, 15
	s_mul_i32 s21, ttmp9, s21
	s_getreg_b32 s20, hwreg(HW_REG_IB_STS2, 6, 4)
	v_mov_b32_e32 v1, v2
	s_add_co_i32 s3, s3, s21
	s_wait_kmcnt 0x0
	s_and_b32 s2, s2, 0xffff
	s_cmp_eq_u32 s20, 0
	s_cselect_b32 s3, ttmp9, s3
	s_delay_alu instid0(SALU_CYCLE_1) | instskip(SKIP_1) | instid1(VALU_DEP_1)
	v_mad_nc_u64_u32 v[4:5], s2, s3, v[0:1]
	s_mov_b32 s2, exec_lo
	v_cmpx_gt_i64_e64 s[8:9], v[4:5]
	s_cbranch_execz .LBB28_26
; %bb.1:
	s_mul_u64 s[8:9], s[12:13], s[10:11]
                                        ; implicit-def: $vgpr0_vgpr1
	s_mov_b32 s2, exec_lo
	s_mul_u64 s[12:13], s[8:9], s[14:15]
	s_delay_alu instid0(SALU_CYCLE_1) | instskip(NEXT) | instid1(VALU_DEP_1)
	v_dual_ashrrev_i32 v8, 31, v5 :: v_dual_bitop2_b32 v3, s13, v5 bitop3:0x54
	v_cmpx_ne_u64_e32 0, v[2:3]
	s_xor_b32 s3, exec_lo, s2
	s_cbranch_execz .LBB28_3
; %bb.2:
	s_ashr_i32 s14, s13, 31
	s_mov_b32 s29, 0
	s_mov_b32 s15, s14
	v_dual_mov_b32 v9, v8 :: v_dual_mov_b32 v3, 0
	s_add_nc_u64 s[20:21], s[12:13], s[14:15]
	s_delay_alu instid0(SALU_CYCLE_1) | instskip(NEXT) | instid1(VALU_DEP_1)
	s_xor_b64 s[20:21], s[20:21], s[14:15]
	v_add_nc_u64_e32 v[0:1], v[4:5], v[8:9]
	s_cvt_f32_u32 s2, s20
	s_cvt_f32_u32 s15, s21
	s_sub_nc_u64 s[24:25], 0, s[20:21]
	v_dual_mov_b32 v7, v3 :: v_dual_mov_b32 v15, v3
	s_delay_alu instid0(SALU_CYCLE_1) | instskip(NEXT) | instid1(VALU_DEP_2)
	s_fmamk_f32 s2, s15, 0x4f800000, s2
	v_xor_b32_e32 v2, v0, v8
	v_xor_b32_e32 v6, v1, v8
	s_delay_alu instid0(SALU_CYCLE_1) | instskip(NEXT) | instid1(TRANS32_DEP_1)
	v_s_rcp_f32 s2, s2
	s_mul_f32 s2, s2, 0x5f7ffffc
	s_delay_alu instid0(SALU_CYCLE_3) | instskip(NEXT) | instid1(SALU_CYCLE_3)
	s_mul_f32 s15, s2, 0x2f800000
	s_trunc_f32 s15, s15
	s_delay_alu instid0(SALU_CYCLE_3) | instskip(SKIP_1) | instid1(SALU_CYCLE_2)
	s_fmamk_f32 s2, s15, 0xcf800000, s2
	s_cvt_u32_f32 s23, s15
	s_cvt_u32_f32 s22, s2
	s_delay_alu instid0(SALU_CYCLE_3) | instskip(NEXT) | instid1(SALU_CYCLE_1)
	s_mul_u64 s[26:27], s[24:25], s[22:23]
	s_mul_hi_u32 s31, s22, s27
	s_mul_i32 s30, s22, s27
	s_mul_hi_u32 s28, s22, s26
	s_mul_i32 s15, s23, s26
	s_add_nc_u64 s[30:31], s[28:29], s[30:31]
	s_mul_hi_u32 s2, s23, s26
	s_mul_hi_u32 s33, s23, s27
	s_add_co_u32 s15, s30, s15
	s_add_co_ci_u32 s28, s31, s2
	s_mul_i32 s26, s23, s27
	s_add_co_ci_u32 s27, s33, 0
	s_delay_alu instid0(SALU_CYCLE_1) | instskip(NEXT) | instid1(SALU_CYCLE_1)
	s_add_nc_u64 s[26:27], s[28:29], s[26:27]
	s_add_co_u32 s22, s22, s26
	s_cselect_b32 s2, -1, 0
	s_delay_alu instid0(SALU_CYCLE_1) | instskip(SKIP_1) | instid1(SALU_CYCLE_1)
	s_cmp_lg_u32 s2, 0
	s_add_co_ci_u32 s23, s23, s27
	s_mul_u64 s[24:25], s[24:25], s[22:23]
	s_delay_alu instid0(SALU_CYCLE_1)
	s_mul_hi_u32 s27, s22, s25
	s_mul_i32 s26, s22, s25
	s_mul_hi_u32 s28, s22, s24
	s_mul_i32 s15, s23, s24
	s_add_nc_u64 s[26:27], s[28:29], s[26:27]
	s_mul_hi_u32 s2, s23, s24
	s_mul_hi_u32 s30, s23, s25
	s_add_co_u32 s15, s26, s15
	s_add_co_ci_u32 s28, s27, s2
	s_mul_i32 s24, s23, s25
	s_add_co_ci_u32 s25, s30, 0
	s_delay_alu instid0(SALU_CYCLE_1) | instskip(NEXT) | instid1(SALU_CYCLE_1)
	s_add_nc_u64 s[24:25], s[28:29], s[24:25]
	s_add_co_u32 s2, s22, s24
	s_cselect_b32 s15, -1, 0
	v_nop
	v_mul_hi_u32 v14, v2, s2
	s_cmp_lg_u32 s15, 0
	s_add_co_ci_u32 s28, s23, s25
	s_mov_b64 s[22:23], 0xffffffff
	v_mul_u64_e32 v[10:11], s[28:29], v[2:3]
	s_and_b64 s[22:23], s[2:3], s[22:23]
	v_mul_u64_e32 v[12:13], s[28:29], v[6:7]
	v_mul_u64_e32 v[0:1], s[22:23], v[6:7]
	s_delay_alu instid0(VALU_DEP_3) | instskip(NEXT) | instid1(VALU_DEP_1)
	v_add_nc_u64_e32 v[10:11], v[14:15], v[10:11]
	v_add_co_u32 v0, vcc_lo, v10, v0
	s_delay_alu instid0(VALU_DEP_2) | instskip(SKIP_1) | instid1(VALU_DEP_1)
	v_add_co_ci_u32_e32 v14, vcc_lo, v11, v1, vcc_lo
	v_add_co_ci_u32_e32 v13, vcc_lo, 0, v13, vcc_lo
	v_add_nc_u64_e32 v[0:1], v[14:15], v[12:13]
	s_delay_alu instid0(VALU_DEP_1) | instskip(NEXT) | instid1(VALU_DEP_1)
	v_mul_u64_e32 v[10:11], s[20:21], v[0:1]
	v_sub_nc_u32_e32 v3, v6, v11
	s_delay_alu instid0(VALU_DEP_2) | instskip(NEXT) | instid1(VALU_DEP_1)
	v_sub_co_u32 v2, vcc_lo, v2, v10
	v_sub_co_ci_u32_e64 v9, null, v6, v11, vcc_lo
	s_delay_alu instid0(VALU_DEP_3) | instskip(NEXT) | instid1(VALU_DEP_3)
	v_subrev_co_ci_u32_e64 v3, null, s21, v3, vcc_lo
	v_sub_co_u32 v7, s2, v2, s20
	s_delay_alu instid0(VALU_DEP_1) | instskip(NEXT) | instid1(VALU_DEP_2)
	v_subrev_co_ci_u32_e64 v3, null, 0, v3, s2
	v_cmp_le_u32_e32 vcc_lo, s20, v7
	v_cndmask_b32_e64 v6, 0, -1, vcc_lo
	s_delay_alu instid0(VALU_DEP_3)
	v_cmp_le_u32_e32 vcc_lo, s21, v3
	v_cndmask_b32_e64 v7, 0, -1, vcc_lo
	v_cmp_le_u32_e32 vcc_lo, s20, v2
	v_cndmask_b32_e64 v10, 0, -1, vcc_lo
	;; [unrolled: 2-line block ×3, first 2 shown]
	v_cmp_eq_u32_e32 vcc_lo, s21, v3
	v_add_nc_u64_e32 v[2:3], 2, v[0:1]
	v_cndmask_b32_e32 v12, v7, v6, vcc_lo
	v_cmp_eq_u32_e32 vcc_lo, s21, v9
	v_add_nc_u64_e32 v[6:7], 1, v[0:1]
	v_cndmask_b32_e32 v9, v11, v10, vcc_lo
	s_delay_alu instid0(VALU_DEP_4) | instskip(NEXT) | instid1(VALU_DEP_3)
	v_cmp_ne_u32_e32 vcc_lo, 0, v12
	v_dual_cndmask_b32 v3, v7, v3 :: v_dual_cndmask_b32 v6, v6, v2
	v_xor_b32_e32 v2, s14, v8
	s_delay_alu instid0(VALU_DEP_4) | instskip(NEXT) | instid1(VALU_DEP_1)
	v_cmp_ne_u32_e64 s2, 0, v9
	v_dual_cndmask_b32 v1, v1, v3, s2 :: v_dual_cndmask_b32 v0, v0, v6, s2
	s_delay_alu instid0(VALU_DEP_1) | instskip(NEXT) | instid1(VALU_DEP_2)
	v_dual_mov_b32 v3, v2 :: v_dual_bitop2_b32 v1, v1, v2 bitop3:0x14
	v_xor_b32_e32 v0, v0, v2
	s_delay_alu instid0(VALU_DEP_1)
	v_sub_nc_u64_e32 v[0:1], v[0:1], v[2:3]
.LBB28_3:
	s_and_not1_saveexec_b32 s2, s3
	s_cbranch_execz .LBB28_5
; %bb.4:
	v_cvt_f32_u32_e32 v0, s12
	s_sub_co_i32 s3, 0, s12
	s_delay_alu instid0(VALU_DEP_1) | instskip(SKIP_1) | instid1(TRANS32_DEP_1)
	v_rcp_iflag_f32_e32 v0, v0
	v_nop
	v_mul_f32_e32 v0, 0x4f7ffffe, v0
	s_delay_alu instid0(VALU_DEP_1) | instskip(NEXT) | instid1(VALU_DEP_1)
	v_cvt_u32_f32_e32 v0, v0
	v_mul_lo_u32 v1, s3, v0
	s_delay_alu instid0(VALU_DEP_1) | instskip(NEXT) | instid1(VALU_DEP_1)
	v_mul_hi_u32 v1, v0, v1
	v_add_nc_u32_e32 v0, v0, v1
	s_delay_alu instid0(VALU_DEP_1) | instskip(NEXT) | instid1(VALU_DEP_1)
	v_mul_hi_u32 v0, v4, v0
	v_mul_lo_u32 v1, v0, s12
	s_delay_alu instid0(VALU_DEP_1) | instskip(NEXT) | instid1(VALU_DEP_1)
	v_dual_add_nc_u32 v2, 1, v0 :: v_dual_sub_nc_u32 v1, v4, v1
	v_subrev_nc_u32_e32 v3, s12, v1
	v_cmp_le_u32_e32 vcc_lo, s12, v1
	s_delay_alu instid0(VALU_DEP_2) | instskip(NEXT) | instid1(VALU_DEP_1)
	v_dual_cndmask_b32 v1, v1, v3 :: v_dual_cndmask_b32 v0, v0, v2
	v_cmp_le_u32_e32 vcc_lo, s12, v1
	s_delay_alu instid0(VALU_DEP_2) | instskip(NEXT) | instid1(VALU_DEP_1)
	v_dual_mov_b32 v1, 0 :: v_dual_add_nc_u32 v2, 1, v0
	v_cndmask_b32_e32 v0, v0, v2, vcc_lo
.LBB28_5:
	s_or_b32 exec_lo, exec_lo, s2
	s_delay_alu instid0(VALU_DEP_1) | instskip(SKIP_2) | instid1(VALU_DEP_2)
	v_mul_u64_e32 v[2:3], s[12:13], v[0:1]
	s_mov_b32 s2, exec_lo
	v_mov_b32_e32 v10, 0
	v_sub_nc_u64_e32 v[6:7], v[4:5], v[2:3]
                                        ; implicit-def: $vgpr2_vgpr3
	s_delay_alu instid0(VALU_DEP_1) | instskip(NEXT) | instid1(VALU_DEP_1)
	v_or_b32_e32 v11, s9, v7
	v_cmpx_ne_u64_e32 0, v[10:11]
	s_xor_b32 s3, exec_lo, s2
	s_cbranch_execz .LBB28_7
; %bb.6:
	s_ashr_i32 s12, s9, 31
	s_mov_b32 s27, 0
	s_mov_b32 s13, s12
	v_dual_mov_b32 v15, v10 :: v_dual_ashrrev_i32 v2, 31, v7
	s_add_nc_u64 s[14:15], s[8:9], s[12:13]
	v_dual_mov_b32 v23, v10 :: v_dual_mov_b32 v11, v10
	s_xor_b64 s[14:15], s[14:15], s[12:13]
	s_delay_alu instid0(VALU_DEP_2) | instskip(SKIP_3) | instid1(VALU_DEP_1)
	v_mov_b32_e32 v3, v2
	s_cvt_f32_u32 s2, s14
	s_cvt_f32_u32 s13, s15
	s_sub_nc_u64 s[22:23], 0, s[14:15]
	v_add_nc_u64_e32 v[12:13], v[6:7], v[2:3]
	s_delay_alu instid0(SALU_CYCLE_1) | instskip(SKIP_1) | instid1(SALU_CYCLE_2)
	s_fmamk_f32 s2, s13, 0x4f800000, s2
	v_mov_b32_e32 v17, v10
	v_s_rcp_f32 s2, s2
	s_delay_alu instid0(VALU_DEP_2) | instskip(NEXT) | instid1(VALU_DEP_3)
	v_xor_b32_e32 v14, v12, v2
	v_xor_b32_e32 v16, v13, v2
	;; [unrolled: 1-line block ×3, first 2 shown]
	s_delay_alu instid0(TRANS32_DEP_1) | instskip(NEXT) | instid1(SALU_CYCLE_3)
	s_mul_f32 s2, s2, 0x5f7ffffc
	s_mul_f32 s13, s2, 0x2f800000
	s_delay_alu instid0(SALU_CYCLE_3) | instskip(NEXT) | instid1(SALU_CYCLE_3)
	s_trunc_f32 s13, s13
	s_fmamk_f32 s2, s13, 0xcf800000, s2
	s_cvt_u32_f32 s21, s13
	s_delay_alu instid0(SALU_CYCLE_2) | instskip(NEXT) | instid1(SALU_CYCLE_3)
	s_cvt_u32_f32 s20, s2
	s_mul_u64 s[24:25], s[22:23], s[20:21]
	s_delay_alu instid0(SALU_CYCLE_1)
	s_mul_hi_u32 s29, s20, s25
	s_mul_i32 s28, s20, s25
	s_mul_hi_u32 s26, s20, s24
	s_mul_i32 s13, s21, s24
	s_add_nc_u64 s[28:29], s[26:27], s[28:29]
	s_mul_hi_u32 s2, s21, s24
	s_mul_hi_u32 s30, s21, s25
	s_add_co_u32 s13, s28, s13
	s_add_co_ci_u32 s26, s29, s2
	s_mul_i32 s24, s21, s25
	s_add_co_ci_u32 s25, s30, 0
	s_delay_alu instid0(SALU_CYCLE_1) | instskip(NEXT) | instid1(SALU_CYCLE_1)
	s_add_nc_u64 s[24:25], s[26:27], s[24:25]
	s_add_co_u32 s20, s20, s24
	s_cselect_b32 s2, -1, 0
	s_delay_alu instid0(SALU_CYCLE_1) | instskip(SKIP_1) | instid1(SALU_CYCLE_1)
	s_cmp_lg_u32 s2, 0
	s_add_co_ci_u32 s21, s21, s25
	s_mul_u64 s[22:23], s[22:23], s[20:21]
	s_delay_alu instid0(SALU_CYCLE_1)
	s_mul_hi_u32 s25, s20, s23
	s_mul_i32 s24, s20, s23
	s_mul_hi_u32 s26, s20, s22
	s_mul_i32 s13, s21, s22
	s_add_nc_u64 s[24:25], s[26:27], s[24:25]
	s_mul_hi_u32 s2, s21, s22
	s_mul_hi_u32 s28, s21, s23
	s_add_co_u32 s13, s24, s13
	s_add_co_ci_u32 s26, s25, s2
	s_mul_i32 s22, s21, s23
	s_add_co_ci_u32 s23, s28, 0
	s_delay_alu instid0(SALU_CYCLE_1) | instskip(NEXT) | instid1(SALU_CYCLE_1)
	s_add_nc_u64 s[22:23], s[26:27], s[22:23]
	s_add_co_u32 s2, s20, s22
	s_cselect_b32 s13, -1, 0
	v_mul_hi_u32 v22, v14, s2
	s_cmp_lg_u32 s13, 0
	s_add_co_ci_u32 s26, s21, s23
	s_mov_b64 s[20:21], 0xffffffff
	v_mul_u64_e32 v[18:19], s[26:27], v[14:15]
	s_and_b64 s[20:21], s[2:3], s[20:21]
	v_mul_u64_e32 v[20:21], s[26:27], v[16:17]
	v_mul_u64_e32 v[12:13], s[20:21], v[16:17]
	s_delay_alu instid0(VALU_DEP_3) | instskip(NEXT) | instid1(VALU_DEP_1)
	v_add_nc_u64_e32 v[18:19], v[22:23], v[18:19]
	v_add_co_u32 v3, vcc_lo, v18, v12
	s_delay_alu instid0(VALU_DEP_2) | instskip(SKIP_1) | instid1(VALU_DEP_1)
	v_add_co_ci_u32_e32 v10, vcc_lo, v19, v13, vcc_lo
	v_add_co_ci_u32_e32 v21, vcc_lo, 0, v21, vcc_lo
	v_add_nc_u64_e32 v[10:11], v[10:11], v[20:21]
	s_delay_alu instid0(VALU_DEP_1) | instskip(NEXT) | instid1(VALU_DEP_1)
	v_mul_u64_e32 v[12:13], s[14:15], v[10:11]
	v_sub_co_u32 v9, vcc_lo, v14, v12
	v_add_nc_u64_e32 v[14:15], 1, v[10:11]
	s_delay_alu instid0(VALU_DEP_3) | instskip(SKIP_1) | instid1(VALU_DEP_4)
	v_sub_nc_u32_e32 v3, v16, v13
	v_sub_co_ci_u32_e64 v16, null, v16, v13, vcc_lo
	v_sub_co_u32 v12, s2, v9, s14
	s_delay_alu instid0(VALU_DEP_3) | instskip(NEXT) | instid1(VALU_DEP_2)
	v_subrev_co_ci_u32_e64 v3, null, s15, v3, vcc_lo
	v_cmp_le_u32_e32 vcc_lo, s14, v12
	s_delay_alu instid0(VALU_DEP_2) | instskip(SKIP_1) | instid1(VALU_DEP_2)
	v_subrev_co_ci_u32_e64 v3, null, 0, v3, s2
	v_cndmask_b32_e64 v12, 0, -1, vcc_lo
	v_cmp_le_u32_e32 vcc_lo, s15, v3
	v_cndmask_b32_e64 v13, 0, -1, vcc_lo
	v_cmp_le_u32_e32 vcc_lo, s14, v9
	;; [unrolled: 2-line block ×3, first 2 shown]
	v_cndmask_b32_e64 v17, 0, -1, vcc_lo
	v_cmp_eq_u32_e32 vcc_lo, s15, v3
	v_cndmask_b32_e32 v3, v13, v12, vcc_lo
	v_cmp_eq_u32_e32 vcc_lo, s15, v16
	v_add_nc_u64_e32 v[12:13], 2, v[10:11]
	v_cndmask_b32_e32 v9, v17, v9, vcc_lo
	s_delay_alu instid0(VALU_DEP_4) | instskip(NEXT) | instid1(VALU_DEP_2)
	v_cmp_ne_u32_e32 vcc_lo, 0, v3
	v_cmp_ne_u32_e64 s2, 0, v9
	s_delay_alu instid0(VALU_DEP_4) | instskip(NEXT) | instid1(VALU_DEP_1)
	v_cndmask_b32_e32 v9, v14, v12, vcc_lo
	v_cndmask_b32_e64 v9, v10, v9, s2
	s_delay_alu instid0(VALU_DEP_1) | instskip(NEXT) | instid1(VALU_DEP_1)
	v_dual_cndmask_b32 v3, v15, v13, vcc_lo :: v_dual_bitop2_b32 v10, v9, v2 bitop3:0x14
	v_dual_cndmask_b32 v11, v11, v3, s2 :: v_dual_mov_b32 v3, v2
	s_delay_alu instid0(VALU_DEP_1) | instskip(NEXT) | instid1(VALU_DEP_1)
	v_xor_b32_e32 v11, v11, v2
	v_sub_nc_u64_e32 v[2:3], v[10:11], v[2:3]
.LBB28_7:
	s_and_not1_saveexec_b32 s2, s3
	s_cbranch_execz .LBB28_9
; %bb.8:
	v_cvt_f32_u32_e32 v2, s8
	s_sub_co_i32 s3, 0, s8
	s_delay_alu instid0(VALU_DEP_1) | instskip(SKIP_1) | instid1(TRANS32_DEP_1)
	v_rcp_iflag_f32_e32 v2, v2
	v_nop
	v_mul_f32_e32 v2, 0x4f7ffffe, v2
	s_delay_alu instid0(VALU_DEP_1) | instskip(NEXT) | instid1(VALU_DEP_1)
	v_cvt_u32_f32_e32 v2, v2
	v_mul_lo_u32 v3, s3, v2
	s_delay_alu instid0(VALU_DEP_1) | instskip(NEXT) | instid1(VALU_DEP_1)
	v_mul_hi_u32 v3, v2, v3
	v_add_nc_u32_e32 v2, v2, v3
	s_delay_alu instid0(VALU_DEP_1) | instskip(NEXT) | instid1(VALU_DEP_1)
	v_mul_hi_u32 v2, v6, v2
	v_mul_lo_u32 v3, v2, s8
	s_delay_alu instid0(VALU_DEP_1) | instskip(NEXT) | instid1(VALU_DEP_1)
	v_dual_add_nc_u32 v9, 1, v2 :: v_dual_sub_nc_u32 v3, v6, v3
	v_subrev_nc_u32_e32 v10, s8, v3
	v_cmp_le_u32_e32 vcc_lo, s8, v3
	s_delay_alu instid0(VALU_DEP_2) | instskip(NEXT) | instid1(VALU_DEP_1)
	v_dual_cndmask_b32 v3, v3, v10 :: v_dual_cndmask_b32 v2, v2, v9
	v_cmp_le_u32_e32 vcc_lo, s8, v3
	s_delay_alu instid0(VALU_DEP_2) | instskip(NEXT) | instid1(VALU_DEP_1)
	v_dual_add_nc_u32 v9, 1, v2 :: v_dual_mov_b32 v3, 0
	v_cndmask_b32_e32 v2, v2, v9, vcc_lo
.LBB28_9:
	s_or_b32 exec_lo, exec_lo, s2
	s_delay_alu instid0(VALU_DEP_1) | instskip(SKIP_2) | instid1(VALU_DEP_2)
	v_mul_u64_e32 v[10:11], s[8:9], v[2:3]
	s_mov_b32 s2, exec_lo
	v_mov_b32_e32 v12, 0
	v_sub_nc_u64_e32 v[6:7], v[6:7], v[10:11]
                                        ; implicit-def: $vgpr10_vgpr11
	s_delay_alu instid0(VALU_DEP_1) | instskip(NEXT) | instid1(VALU_DEP_1)
	v_or_b32_e32 v13, s11, v7
	v_cmpx_ne_u64_e32 0, v[12:13]
	s_xor_b32 s3, exec_lo, s2
	s_cbranch_execz .LBB28_11
; %bb.10:
	s_ashr_i32 s8, s11, 31
	s_mov_b32 s25, 0
	s_mov_b32 s9, s8
	v_dual_mov_b32 v17, v12 :: v_dual_ashrrev_i32 v10, 31, v7
	s_add_nc_u64 s[12:13], s[10:11], s[8:9]
	v_mov_b32_e32 v19, v12
	s_xor_b64 s[12:13], s[12:13], s[8:9]
	s_delay_alu instid0(VALU_DEP_2)
	v_mov_b32_e32 v11, v10
	s_cvt_f32_u32 s2, s12
	s_cvt_f32_u32 s9, s13
	s_sub_nc_u64 s[20:21], 0, s[12:13]
	v_mov_b32_e32 v25, v12
	v_add_nc_u64_e32 v[14:15], v[6:7], v[10:11]
	s_fmamk_f32 s2, s9, 0x4f800000, s2
	v_mov_b32_e32 v13, v12
	s_delay_alu instid0(SALU_CYCLE_2) | instskip(NEXT) | instid1(VALU_DEP_2)
	v_s_rcp_f32 s2, s2
	v_xor_b32_e32 v16, v14, v10
	s_delay_alu instid0(VALU_DEP_3) | instskip(SKIP_1) | instid1(TRANS32_DEP_1)
	v_xor_b32_e32 v18, v15, v10
	v_xor_b32_e32 v10, s8, v10
	s_mul_f32 s2, s2, 0x5f7ffffc
	s_delay_alu instid0(SALU_CYCLE_3) | instskip(NEXT) | instid1(SALU_CYCLE_3)
	s_mul_f32 s9, s2, 0x2f800000
	s_trunc_f32 s9, s9
	s_delay_alu instid0(SALU_CYCLE_3) | instskip(SKIP_1) | instid1(SALU_CYCLE_2)
	s_fmamk_f32 s2, s9, 0xcf800000, s2
	s_cvt_u32_f32 s15, s9
	s_cvt_u32_f32 s14, s2
	s_delay_alu instid0(SALU_CYCLE_3) | instskip(NEXT) | instid1(SALU_CYCLE_1)
	s_mul_u64 s[22:23], s[20:21], s[14:15]
	s_mul_hi_u32 s27, s14, s23
	s_mul_i32 s26, s14, s23
	s_mul_hi_u32 s24, s14, s22
	s_mul_i32 s9, s15, s22
	s_add_nc_u64 s[26:27], s[24:25], s[26:27]
	s_mul_hi_u32 s2, s15, s22
	s_mul_hi_u32 s28, s15, s23
	s_add_co_u32 s9, s26, s9
	s_add_co_ci_u32 s24, s27, s2
	s_mul_i32 s22, s15, s23
	s_add_co_ci_u32 s23, s28, 0
	s_delay_alu instid0(SALU_CYCLE_1) | instskip(NEXT) | instid1(SALU_CYCLE_1)
	s_add_nc_u64 s[22:23], s[24:25], s[22:23]
	s_add_co_u32 s14, s14, s22
	s_cselect_b32 s2, -1, 0
	s_delay_alu instid0(SALU_CYCLE_1) | instskip(SKIP_1) | instid1(SALU_CYCLE_1)
	s_cmp_lg_u32 s2, 0
	s_add_co_ci_u32 s15, s15, s23
	s_mul_u64 s[20:21], s[20:21], s[14:15]
	s_delay_alu instid0(SALU_CYCLE_1)
	s_mul_hi_u32 s23, s14, s21
	s_mul_i32 s22, s14, s21
	s_mul_hi_u32 s24, s14, s20
	s_mul_i32 s9, s15, s20
	s_add_nc_u64 s[22:23], s[24:25], s[22:23]
	s_mul_hi_u32 s2, s15, s20
	s_mul_hi_u32 s26, s15, s21
	s_add_co_u32 s9, s22, s9
	s_add_co_ci_u32 s24, s23, s2
	s_mul_i32 s20, s15, s21
	s_add_co_ci_u32 s21, s26, 0
	s_delay_alu instid0(SALU_CYCLE_1) | instskip(NEXT) | instid1(SALU_CYCLE_1)
	s_add_nc_u64 s[20:21], s[24:25], s[20:21]
	s_add_co_u32 s2, s14, s20
	s_cselect_b32 s9, -1, 0
	v_mul_hi_u32 v24, v16, s2
	s_cmp_lg_u32 s9, 0
	s_add_co_ci_u32 s24, s15, s21
	s_mov_b64 s[14:15], 0xffffffff
	v_mul_u64_e32 v[20:21], s[24:25], v[16:17]
	s_and_b64 s[14:15], s[2:3], s[14:15]
	v_mul_u64_e32 v[22:23], s[24:25], v[18:19]
	v_mul_u64_e32 v[14:15], s[14:15], v[18:19]
	s_delay_alu instid0(VALU_DEP_3) | instskip(NEXT) | instid1(VALU_DEP_1)
	v_add_nc_u64_e32 v[20:21], v[24:25], v[20:21]
	v_add_co_u32 v9, vcc_lo, v20, v14
	s_delay_alu instid0(VALU_DEP_2) | instskip(SKIP_1) | instid1(VALU_DEP_1)
	v_add_co_ci_u32_e32 v12, vcc_lo, v21, v15, vcc_lo
	v_add_co_ci_u32_e32 v23, vcc_lo, 0, v23, vcc_lo
	v_add_nc_u64_e32 v[12:13], v[12:13], v[22:23]
	s_delay_alu instid0(VALU_DEP_1) | instskip(NEXT) | instid1(VALU_DEP_1)
	v_mul_u64_e32 v[14:15], s[12:13], v[12:13]
	v_sub_co_u32 v11, vcc_lo, v16, v14
	v_add_nc_u64_e32 v[16:17], 1, v[12:13]
	s_delay_alu instid0(VALU_DEP_3) | instskip(SKIP_1) | instid1(VALU_DEP_4)
	v_sub_nc_u32_e32 v9, v18, v15
	v_sub_co_ci_u32_e64 v18, null, v18, v15, vcc_lo
	v_sub_co_u32 v14, s2, v11, s12
	s_delay_alu instid0(VALU_DEP_3) | instskip(NEXT) | instid1(VALU_DEP_2)
	v_subrev_co_ci_u32_e64 v9, null, s13, v9, vcc_lo
	v_cmp_le_u32_e32 vcc_lo, s12, v14
	s_delay_alu instid0(VALU_DEP_2) | instskip(SKIP_1) | instid1(VALU_DEP_2)
	v_subrev_co_ci_u32_e64 v9, null, 0, v9, s2
	v_cndmask_b32_e64 v14, 0, -1, vcc_lo
	v_cmp_le_u32_e32 vcc_lo, s13, v9
	v_cndmask_b32_e64 v15, 0, -1, vcc_lo
	v_cmp_le_u32_e32 vcc_lo, s12, v11
	;; [unrolled: 2-line block ×3, first 2 shown]
	v_cndmask_b32_e64 v19, 0, -1, vcc_lo
	v_cmp_eq_u32_e32 vcc_lo, s13, v9
	v_cndmask_b32_e32 v9, v15, v14, vcc_lo
	v_cmp_eq_u32_e32 vcc_lo, s13, v18
	v_add_nc_u64_e32 v[14:15], 2, v[12:13]
	v_cndmask_b32_e32 v11, v19, v11, vcc_lo
	s_delay_alu instid0(VALU_DEP_4) | instskip(NEXT) | instid1(VALU_DEP_2)
	v_cmp_ne_u32_e32 vcc_lo, 0, v9
	v_cmp_ne_u32_e64 s2, 0, v11
	s_delay_alu instid0(VALU_DEP_4) | instskip(NEXT) | instid1(VALU_DEP_1)
	v_dual_cndmask_b32 v9, v17, v15, vcc_lo :: v_dual_cndmask_b32 v11, v16, v14, vcc_lo
	v_dual_cndmask_b32 v12, v12, v11, s2 :: v_dual_mov_b32 v11, v10
	s_delay_alu instid0(VALU_DEP_1) | instskip(NEXT) | instid1(VALU_DEP_1)
	v_dual_cndmask_b32 v9, v13, v9, s2 :: v_dual_bitop2_b32 v12, v12, v10 bitop3:0x14
	v_xor_b32_e32 v13, v9, v10
	s_delay_alu instid0(VALU_DEP_1)
	v_sub_nc_u64_e32 v[10:11], v[12:13], v[10:11]
.LBB28_11:
	s_and_not1_saveexec_b32 s2, s3
	s_cbranch_execz .LBB28_13
; %bb.12:
	v_cvt_f32_u32_e32 v9, s10
	s_sub_co_i32 s3, 0, s10
	s_delay_alu instid0(VALU_DEP_1) | instskip(SKIP_1) | instid1(TRANS32_DEP_1)
	v_rcp_iflag_f32_e32 v9, v9
	v_nop
	v_mul_f32_e32 v9, 0x4f7ffffe, v9
	s_delay_alu instid0(VALU_DEP_1) | instskip(NEXT) | instid1(VALU_DEP_1)
	v_cvt_u32_f32_e32 v9, v9
	v_mul_lo_u32 v10, s3, v9
	s_delay_alu instid0(VALU_DEP_1) | instskip(NEXT) | instid1(VALU_DEP_1)
	v_mul_hi_u32 v10, v9, v10
	v_add_nc_u32_e32 v9, v9, v10
	s_delay_alu instid0(VALU_DEP_1) | instskip(NEXT) | instid1(VALU_DEP_1)
	v_mul_hi_u32 v9, v6, v9
	v_mul_lo_u32 v10, v9, s10
	s_delay_alu instid0(VALU_DEP_1) | instskip(NEXT) | instid1(VALU_DEP_1)
	v_dual_add_nc_u32 v11, 1, v9 :: v_dual_sub_nc_u32 v10, v6, v10
	v_subrev_nc_u32_e32 v12, s10, v10
	v_cmp_le_u32_e32 vcc_lo, s10, v10
	s_delay_alu instid0(VALU_DEP_2) | instskip(NEXT) | instid1(VALU_DEP_1)
	v_dual_cndmask_b32 v10, v10, v12 :: v_dual_cndmask_b32 v9, v9, v11
	v_cmp_le_u32_e32 vcc_lo, s10, v10
	s_delay_alu instid0(VALU_DEP_2) | instskip(NEXT) | instid1(VALU_DEP_1)
	v_add_nc_u32_e32 v11, 1, v9
	v_dual_cndmask_b32 v10, v9, v11 :: v_dual_mov_b32 v11, 0
.LBB28_13:
	s_or_b32 exec_lo, exec_lo, s2
	s_load_b512 s[36:51], s[0:1], 0x40
                                        ; implicit-def: $vgpr12_vgpr13
	s_mov_b32 s2, exec_lo
	v_mov_b32_e32 v14, 0
	s_wait_kmcnt 0x0
	s_mul_u64 s[8:9], s[42:43], s[40:41]
	s_delay_alu instid0(SALU_CYCLE_1) | instskip(NEXT) | instid1(SALU_CYCLE_1)
	s_mul_u64 s[12:13], s[8:9], s[44:45]
	v_or_b32_e32 v15, s13, v5
	s_delay_alu instid0(VALU_DEP_1)
	v_cmpx_ne_u64_e32 0, v[14:15]
	s_xor_b32 s3, exec_lo, s2
	s_cbranch_execz .LBB28_15
; %bb.14:
	s_ashr_i32 s14, s13, 31
	s_mov_b32 s29, 0
	s_mov_b32 s15, s14
	v_dual_mov_b32 v9, v8 :: v_dual_mov_b32 v17, v14
	s_add_nc_u64 s[20:21], s[12:13], s[14:15]
	v_mov_b32_e32 v15, v14
	s_xor_b64 s[20:21], s[20:21], s[14:15]
	s_delay_alu instid0(VALU_DEP_2) | instskip(SKIP_4) | instid1(SALU_CYCLE_1)
	v_add_nc_u64_e32 v[12:13], v[4:5], v[8:9]
	s_cvt_f32_u32 s2, s20
	s_cvt_f32_u32 s15, s21
	s_sub_nc_u64 s[24:25], 0, s[20:21]
	v_dual_mov_b32 v19, v14 :: v_dual_mov_b32 v25, v14
	s_fmamk_f32 s2, s15, 0x4f800000, s2
	s_delay_alu instid0(VALU_DEP_2) | instskip(SKIP_3) | instid1(TRANS32_DEP_1)
	v_xor_b32_e32 v16, v12, v8
	v_xor_b32_e32 v18, v13, v8
	;; [unrolled: 1-line block ×3, first 2 shown]
	v_s_rcp_f32 s2, s2
	s_mul_f32 s2, s2, 0x5f7ffffc
	s_delay_alu instid0(SALU_CYCLE_3) | instskip(NEXT) | instid1(SALU_CYCLE_3)
	s_mul_f32 s15, s2, 0x2f800000
	s_trunc_f32 s15, s15
	s_delay_alu instid0(SALU_CYCLE_3) | instskip(SKIP_1) | instid1(SALU_CYCLE_2)
	s_fmamk_f32 s2, s15, 0xcf800000, s2
	s_cvt_u32_f32 s23, s15
	s_cvt_u32_f32 s22, s2
	s_delay_alu instid0(SALU_CYCLE_3) | instskip(NEXT) | instid1(SALU_CYCLE_1)
	s_mul_u64 s[26:27], s[24:25], s[22:23]
	s_mul_hi_u32 s31, s22, s27
	s_mul_i32 s30, s22, s27
	s_mul_hi_u32 s28, s22, s26
	s_mul_i32 s15, s23, s26
	s_add_nc_u64 s[30:31], s[28:29], s[30:31]
	s_mul_hi_u32 s2, s23, s26
	s_mul_hi_u32 s33, s23, s27
	s_add_co_u32 s15, s30, s15
	s_add_co_ci_u32 s28, s31, s2
	s_mul_i32 s26, s23, s27
	s_add_co_ci_u32 s27, s33, 0
	s_delay_alu instid0(SALU_CYCLE_1) | instskip(NEXT) | instid1(SALU_CYCLE_1)
	s_add_nc_u64 s[26:27], s[28:29], s[26:27]
	s_add_co_u32 s22, s22, s26
	s_cselect_b32 s2, -1, 0
	s_delay_alu instid0(SALU_CYCLE_1) | instskip(SKIP_1) | instid1(SALU_CYCLE_1)
	s_cmp_lg_u32 s2, 0
	s_add_co_ci_u32 s23, s23, s27
	s_mul_u64 s[24:25], s[24:25], s[22:23]
	s_delay_alu instid0(SALU_CYCLE_1)
	s_mul_hi_u32 s27, s22, s25
	s_mul_i32 s26, s22, s25
	s_mul_hi_u32 s28, s22, s24
	s_mul_i32 s15, s23, s24
	s_add_nc_u64 s[26:27], s[28:29], s[26:27]
	s_mul_hi_u32 s2, s23, s24
	s_mul_hi_u32 s30, s23, s25
	s_add_co_u32 s15, s26, s15
	s_add_co_ci_u32 s28, s27, s2
	s_mul_i32 s24, s23, s25
	s_add_co_ci_u32 s25, s30, 0
	s_delay_alu instid0(SALU_CYCLE_1) | instskip(NEXT) | instid1(SALU_CYCLE_1)
	s_add_nc_u64 s[24:25], s[28:29], s[24:25]
	s_add_co_u32 s2, s22, s24
	s_cselect_b32 s15, -1, 0
	v_nop
	v_mul_hi_u32 v24, v16, s2
	s_cmp_lg_u32 s15, 0
	s_add_co_ci_u32 s28, s23, s25
	s_mov_b64 s[22:23], 0xffffffff
	v_mul_u64_e32 v[20:21], s[28:29], v[16:17]
	s_and_b64 s[22:23], s[2:3], s[22:23]
	v_mul_u64_e32 v[22:23], s[28:29], v[18:19]
	v_mul_u64_e32 v[12:13], s[22:23], v[18:19]
	s_delay_alu instid0(VALU_DEP_3) | instskip(NEXT) | instid1(VALU_DEP_1)
	v_add_nc_u64_e32 v[20:21], v[24:25], v[20:21]
	v_add_co_u32 v9, vcc_lo, v20, v12
	s_delay_alu instid0(VALU_DEP_2) | instskip(SKIP_1) | instid1(VALU_DEP_1)
	v_add_co_ci_u32_e32 v14, vcc_lo, v21, v13, vcc_lo
	v_add_co_ci_u32_e32 v23, vcc_lo, 0, v23, vcc_lo
	v_add_nc_u64_e32 v[12:13], v[14:15], v[22:23]
	s_delay_alu instid0(VALU_DEP_1) | instskip(NEXT) | instid1(VALU_DEP_1)
	v_mul_u64_e32 v[14:15], s[20:21], v[12:13]
	v_sub_nc_u32_e32 v9, v18, v15
	s_delay_alu instid0(VALU_DEP_2) | instskip(NEXT) | instid1(VALU_DEP_1)
	v_sub_co_u32 v14, vcc_lo, v16, v14
	v_sub_co_ci_u32_e64 v18, null, v18, v15, vcc_lo
	s_delay_alu instid0(VALU_DEP_3) | instskip(NEXT) | instid1(VALU_DEP_3)
	v_subrev_co_ci_u32_e64 v9, null, s21, v9, vcc_lo
	v_sub_co_u32 v16, s2, v14, s20
	s_delay_alu instid0(VALU_DEP_1) | instskip(NEXT) | instid1(VALU_DEP_2)
	v_subrev_co_ci_u32_e64 v9, null, 0, v9, s2
	v_cmp_le_u32_e32 vcc_lo, s20, v16
	v_cndmask_b32_e64 v15, 0, -1, vcc_lo
	s_delay_alu instid0(VALU_DEP_3)
	v_cmp_le_u32_e32 vcc_lo, s21, v9
	v_cndmask_b32_e64 v16, 0, -1, vcc_lo
	v_cmp_le_u32_e32 vcc_lo, s20, v14
	v_cndmask_b32_e64 v19, 0, -1, vcc_lo
	;; [unrolled: 2-line block ×3, first 2 shown]
	v_cmp_eq_u32_e32 vcc_lo, s21, v9
	v_cndmask_b32_e32 v9, v16, v15, vcc_lo
	v_cmp_eq_u32_e32 vcc_lo, s21, v18
	v_add_nc_u64_e32 v[14:15], 2, v[12:13]
	v_add_nc_u64_e32 v[16:17], 1, v[12:13]
	v_cndmask_b32_e32 v18, v20, v19, vcc_lo
	v_cmp_ne_u32_e32 vcc_lo, 0, v9
	s_delay_alu instid0(VALU_DEP_2) | instskip(NEXT) | instid1(VALU_DEP_4)
	v_cmp_ne_u32_e64 s2, 0, v18
	v_dual_cndmask_b32 v14, v16, v14 :: v_dual_cndmask_b32 v9, v17, v15
	s_delay_alu instid0(VALU_DEP_1) | instskip(SKIP_1) | instid1(VALU_DEP_2)
	v_dual_cndmask_b32 v12, v12, v14, s2 :: v_dual_cndmask_b32 v13, v13, v9, s2
	v_mov_b32_e32 v9, v8
	v_xor_b32_e32 v12, v12, v8
	s_delay_alu instid0(VALU_DEP_3) | instskip(NEXT) | instid1(VALU_DEP_1)
	v_xor_b32_e32 v13, v13, v8
	v_sub_nc_u64_e32 v[12:13], v[12:13], v[8:9]
.LBB28_15:
	s_and_not1_saveexec_b32 s2, s3
	s_cbranch_execz .LBB28_17
; %bb.16:
	v_cvt_f32_u32_e32 v8, s12
	s_sub_co_i32 s3, 0, s12
	s_delay_alu instid0(VALU_DEP_1) | instskip(SKIP_1) | instid1(TRANS32_DEP_1)
	v_rcp_iflag_f32_e32 v8, v8
	v_nop
	v_mul_f32_e32 v8, 0x4f7ffffe, v8
	s_delay_alu instid0(VALU_DEP_1) | instskip(NEXT) | instid1(VALU_DEP_1)
	v_cvt_u32_f32_e32 v8, v8
	v_mul_lo_u32 v9, s3, v8
	s_delay_alu instid0(VALU_DEP_1) | instskip(NEXT) | instid1(VALU_DEP_1)
	v_mul_hi_u32 v9, v8, v9
	v_add_nc_u32_e32 v8, v8, v9
	s_delay_alu instid0(VALU_DEP_1) | instskip(NEXT) | instid1(VALU_DEP_1)
	v_mul_hi_u32 v8, v4, v8
	v_mul_lo_u32 v9, v8, s12
	s_delay_alu instid0(VALU_DEP_1) | instskip(NEXT) | instid1(VALU_DEP_1)
	v_sub_nc_u32_e32 v9, v4, v9
	v_subrev_nc_u32_e32 v13, s12, v9
	v_cmp_le_u32_e32 vcc_lo, s12, v9
	s_delay_alu instid0(VALU_DEP_2) | instskip(NEXT) | instid1(VALU_DEP_1)
	v_dual_cndmask_b32 v9, v9, v13 :: v_dual_add_nc_u32 v12, 1, v8
	v_dual_cndmask_b32 v8, v8, v12 :: v_dual_mov_b32 v13, 0
	s_delay_alu instid0(VALU_DEP_2) | instskip(NEXT) | instid1(VALU_DEP_2)
	v_cmp_le_u32_e32 vcc_lo, s12, v9
	v_add_nc_u32_e32 v12, 1, v8
	s_delay_alu instid0(VALU_DEP_1)
	v_cndmask_b32_e32 v12, v8, v12, vcc_lo
.LBB28_17:
	s_or_b32 exec_lo, exec_lo, s2
	s_delay_alu instid0(VALU_DEP_1) | instskip(SKIP_2) | instid1(VALU_DEP_2)
	v_mul_u64_e32 v[8:9], s[12:13], v[12:13]
	s_mov_b32 s2, exec_lo
	v_mov_b32_e32 v14, 0
	v_sub_nc_u64_e32 v[8:9], v[4:5], v[8:9]
                                        ; implicit-def: $vgpr4_vgpr5
	s_delay_alu instid0(VALU_DEP_1) | instskip(NEXT) | instid1(VALU_DEP_1)
	v_or_b32_e32 v15, s9, v9
	v_cmpx_ne_u64_e32 0, v[14:15]
	s_xor_b32 s3, exec_lo, s2
	s_cbranch_execz .LBB28_19
; %bb.18:
	s_ashr_i32 s12, s9, 31
	s_mov_b32 s27, 0
	s_mov_b32 s13, s12
	v_dual_mov_b32 v19, v14 :: v_dual_ashrrev_i32 v4, 31, v9
	s_add_nc_u64 s[14:15], s[8:9], s[12:13]
	v_mov_b32_e32 v21, v14
	s_xor_b64 s[14:15], s[14:15], s[12:13]
	s_delay_alu instid0(VALU_DEP_2)
	v_mov_b32_e32 v5, v4
	s_cvt_f32_u32 s2, s14
	s_cvt_f32_u32 s13, s15
	s_sub_nc_u64 s[22:23], 0, s[14:15]
	v_mov_b32_e32 v27, v14
	v_add_nc_u64_e32 v[16:17], v[8:9], v[4:5]
	s_fmamk_f32 s2, s13, 0x4f800000, s2
	v_mov_b32_e32 v15, v14
	s_delay_alu instid0(SALU_CYCLE_2) | instskip(NEXT) | instid1(VALU_DEP_2)
	v_s_rcp_f32 s2, s2
	v_xor_b32_e32 v18, v16, v4
	s_delay_alu instid0(VALU_DEP_3) | instskip(SKIP_1) | instid1(TRANS32_DEP_1)
	v_xor_b32_e32 v20, v17, v4
	v_xor_b32_e32 v4, s12, v4
	s_mul_f32 s2, s2, 0x5f7ffffc
	s_delay_alu instid0(SALU_CYCLE_3) | instskip(NEXT) | instid1(SALU_CYCLE_3)
	s_mul_f32 s13, s2, 0x2f800000
	s_trunc_f32 s13, s13
	s_delay_alu instid0(SALU_CYCLE_3) | instskip(SKIP_1) | instid1(SALU_CYCLE_2)
	s_fmamk_f32 s2, s13, 0xcf800000, s2
	s_cvt_u32_f32 s21, s13
	s_cvt_u32_f32 s20, s2
	s_delay_alu instid0(SALU_CYCLE_3) | instskip(NEXT) | instid1(SALU_CYCLE_1)
	s_mul_u64 s[24:25], s[22:23], s[20:21]
	s_mul_hi_u32 s29, s20, s25
	s_mul_i32 s28, s20, s25
	s_mul_hi_u32 s26, s20, s24
	s_mul_i32 s13, s21, s24
	s_add_nc_u64 s[28:29], s[26:27], s[28:29]
	s_mul_hi_u32 s2, s21, s24
	s_mul_hi_u32 s30, s21, s25
	s_add_co_u32 s13, s28, s13
	s_add_co_ci_u32 s26, s29, s2
	s_mul_i32 s24, s21, s25
	s_add_co_ci_u32 s25, s30, 0
	s_delay_alu instid0(SALU_CYCLE_1) | instskip(NEXT) | instid1(SALU_CYCLE_1)
	s_add_nc_u64 s[24:25], s[26:27], s[24:25]
	s_add_co_u32 s20, s20, s24
	s_cselect_b32 s2, -1, 0
	s_delay_alu instid0(SALU_CYCLE_1) | instskip(SKIP_1) | instid1(SALU_CYCLE_1)
	s_cmp_lg_u32 s2, 0
	s_add_co_ci_u32 s21, s21, s25
	s_mul_u64 s[22:23], s[22:23], s[20:21]
	s_delay_alu instid0(SALU_CYCLE_1)
	s_mul_hi_u32 s25, s20, s23
	s_mul_i32 s24, s20, s23
	s_mul_hi_u32 s26, s20, s22
	s_mul_i32 s13, s21, s22
	s_add_nc_u64 s[24:25], s[26:27], s[24:25]
	s_mul_hi_u32 s2, s21, s22
	s_mul_hi_u32 s28, s21, s23
	s_add_co_u32 s13, s24, s13
	s_add_co_ci_u32 s26, s25, s2
	s_mul_i32 s22, s21, s23
	s_add_co_ci_u32 s23, s28, 0
	s_delay_alu instid0(SALU_CYCLE_1) | instskip(NEXT) | instid1(SALU_CYCLE_1)
	s_add_nc_u64 s[22:23], s[26:27], s[22:23]
	s_add_co_u32 s2, s20, s22
	s_cselect_b32 s13, -1, 0
	v_mul_hi_u32 v26, v18, s2
	s_cmp_lg_u32 s13, 0
	s_add_co_ci_u32 s26, s21, s23
	s_mov_b64 s[20:21], 0xffffffff
	v_mul_u64_e32 v[22:23], s[26:27], v[18:19]
	s_and_b64 s[20:21], s[2:3], s[20:21]
	v_mul_u64_e32 v[24:25], s[26:27], v[20:21]
	v_mul_u64_e32 v[16:17], s[20:21], v[20:21]
	s_delay_alu instid0(VALU_DEP_3) | instskip(NEXT) | instid1(VALU_DEP_1)
	v_add_nc_u64_e32 v[22:23], v[26:27], v[22:23]
	v_add_co_u32 v5, vcc_lo, v22, v16
	s_delay_alu instid0(VALU_DEP_2) | instskip(SKIP_1) | instid1(VALU_DEP_1)
	v_add_co_ci_u32_e32 v14, vcc_lo, v23, v17, vcc_lo
	v_add_co_ci_u32_e32 v25, vcc_lo, 0, v25, vcc_lo
	v_add_nc_u64_e32 v[14:15], v[14:15], v[24:25]
	s_delay_alu instid0(VALU_DEP_1) | instskip(NEXT) | instid1(VALU_DEP_1)
	v_mul_u64_e32 v[16:17], s[14:15], v[14:15]
	v_sub_nc_u32_e32 v5, v20, v17
	s_delay_alu instid0(VALU_DEP_2) | instskip(NEXT) | instid1(VALU_DEP_1)
	v_sub_co_u32 v16, vcc_lo, v18, v16
	v_sub_co_ci_u32_e64 v20, null, v20, v17, vcc_lo
	s_delay_alu instid0(VALU_DEP_3) | instskip(NEXT) | instid1(VALU_DEP_3)
	v_subrev_co_ci_u32_e64 v5, null, s15, v5, vcc_lo
	v_sub_co_u32 v18, s2, v16, s14
	s_delay_alu instid0(VALU_DEP_1) | instskip(NEXT) | instid1(VALU_DEP_2)
	v_subrev_co_ci_u32_e64 v5, null, 0, v5, s2
	v_cmp_le_u32_e32 vcc_lo, s14, v18
	v_cndmask_b32_e64 v17, 0, -1, vcc_lo
	s_delay_alu instid0(VALU_DEP_3)
	v_cmp_le_u32_e32 vcc_lo, s15, v5
	v_cndmask_b32_e64 v18, 0, -1, vcc_lo
	v_cmp_le_u32_e32 vcc_lo, s14, v16
	v_cndmask_b32_e64 v21, 0, -1, vcc_lo
	;; [unrolled: 2-line block ×3, first 2 shown]
	v_cmp_eq_u32_e32 vcc_lo, s15, v5
	v_cndmask_b32_e32 v5, v18, v17, vcc_lo
	v_cmp_eq_u32_e32 vcc_lo, s15, v20
	v_add_nc_u64_e32 v[16:17], 2, v[14:15]
	v_add_nc_u64_e32 v[18:19], 1, v[14:15]
	v_cndmask_b32_e32 v20, v22, v21, vcc_lo
	v_cmp_ne_u32_e32 vcc_lo, 0, v5
	s_delay_alu instid0(VALU_DEP_2) | instskip(NEXT) | instid1(VALU_DEP_4)
	v_cmp_ne_u32_e64 s2, 0, v20
	v_dual_cndmask_b32 v16, v18, v16 :: v_dual_cndmask_b32 v5, v19, v17
	s_delay_alu instid0(VALU_DEP_1) | instskip(NEXT) | instid1(VALU_DEP_1)
	v_dual_cndmask_b32 v14, v14, v16, s2 :: v_dual_cndmask_b32 v15, v15, v5, s2
	v_dual_mov_b32 v5, v4 :: v_dual_bitop2_b32 v14, v14, v4 bitop3:0x14
	s_delay_alu instid0(VALU_DEP_2) | instskip(NEXT) | instid1(VALU_DEP_1)
	v_xor_b32_e32 v15, v15, v4
	v_sub_nc_u64_e32 v[4:5], v[14:15], v[4:5]
.LBB28_19:
	s_and_not1_saveexec_b32 s2, s3
	s_cbranch_execz .LBB28_21
; %bb.20:
	v_cvt_f32_u32_e32 v4, s8
	s_sub_co_i32 s3, 0, s8
	s_delay_alu instid0(VALU_DEP_1) | instskip(SKIP_1) | instid1(TRANS32_DEP_1)
	v_rcp_iflag_f32_e32 v4, v4
	v_nop
	v_mul_f32_e32 v4, 0x4f7ffffe, v4
	s_delay_alu instid0(VALU_DEP_1) | instskip(NEXT) | instid1(VALU_DEP_1)
	v_cvt_u32_f32_e32 v4, v4
	v_mul_lo_u32 v5, s3, v4
	s_delay_alu instid0(VALU_DEP_1) | instskip(NEXT) | instid1(VALU_DEP_1)
	v_mul_hi_u32 v5, v4, v5
	v_add_nc_u32_e32 v4, v4, v5
	s_delay_alu instid0(VALU_DEP_1) | instskip(NEXT) | instid1(VALU_DEP_1)
	v_mul_hi_u32 v4, v8, v4
	v_mul_lo_u32 v5, v4, s8
	s_delay_alu instid0(VALU_DEP_1) | instskip(NEXT) | instid1(VALU_DEP_1)
	v_dual_add_nc_u32 v14, 1, v4 :: v_dual_sub_nc_u32 v5, v8, v5
	v_subrev_nc_u32_e32 v15, s8, v5
	v_cmp_le_u32_e32 vcc_lo, s8, v5
	s_delay_alu instid0(VALU_DEP_2) | instskip(NEXT) | instid1(VALU_DEP_1)
	v_dual_cndmask_b32 v5, v5, v15 :: v_dual_cndmask_b32 v4, v4, v14
	v_cmp_le_u32_e32 vcc_lo, s8, v5
	s_delay_alu instid0(VALU_DEP_2) | instskip(NEXT) | instid1(VALU_DEP_1)
	v_dual_mov_b32 v5, 0 :: v_dual_add_nc_u32 v14, 1, v4
	v_cndmask_b32_e32 v4, v4, v14, vcc_lo
.LBB28_21:
	s_or_b32 exec_lo, exec_lo, s2
	s_delay_alu instid0(VALU_DEP_1) | instskip(SKIP_1) | instid1(VALU_DEP_1)
	v_mul_u64_e32 v[14:15], s[8:9], v[4:5]
                                        ; implicit-def: $vgpr16_vgpr17
	s_mov_b32 s2, exec_lo
	v_sub_nc_u64_e32 v[8:9], v[8:9], v[14:15]
	s_delay_alu instid0(VALU_DEP_1) | instskip(NEXT) | instid1(VALU_DEP_1)
	v_dual_mov_b32 v14, 0 :: v_dual_bitop2_b32 v15, s41, v9 bitop3:0x54
	v_cmpx_ne_u64_e32 0, v[14:15]
	s_xor_b32 s3, exec_lo, s2
	s_cbranch_execz .LBB28_23
; %bb.22:
	s_ashr_i32 s8, s41, 31
	s_mov_b32 s25, 0
	s_mov_b32 s9, s8
	v_dual_mov_b32 v21, v14 :: v_dual_ashrrev_i32 v16, 31, v9
	s_add_nc_u64 s[12:13], s[40:41], s[8:9]
	v_dual_mov_b32 v29, v14 :: v_dual_mov_b32 v15, v14
	s_xor_b64 s[12:13], s[12:13], s[8:9]
	s_delay_alu instid0(VALU_DEP_2) | instskip(SKIP_3) | instid1(VALU_DEP_1)
	v_mov_b32_e32 v17, v16
	s_cvt_f32_u32 s2, s12
	s_cvt_f32_u32 s9, s13
	s_sub_nc_u64 s[20:21], 0, s[12:13]
	v_add_nc_u64_e32 v[18:19], v[8:9], v[16:17]
	s_delay_alu instid0(SALU_CYCLE_1) | instskip(SKIP_1) | instid1(SALU_CYCLE_2)
	s_fmamk_f32 s2, s9, 0x4f800000, s2
	v_mov_b32_e32 v23, v14
	v_s_rcp_f32 s2, s2
	s_delay_alu instid0(VALU_DEP_2) | instskip(NEXT) | instid1(VALU_DEP_3)
	v_xor_b32_e32 v20, v18, v16
	v_xor_b32_e32 v22, v19, v16
	;; [unrolled: 1-line block ×3, first 2 shown]
	s_delay_alu instid0(TRANS32_DEP_1) | instskip(NEXT) | instid1(SALU_CYCLE_3)
	s_mul_f32 s2, s2, 0x5f7ffffc
	s_mul_f32 s9, s2, 0x2f800000
	s_delay_alu instid0(SALU_CYCLE_3) | instskip(NEXT) | instid1(SALU_CYCLE_3)
	s_trunc_f32 s9, s9
	s_fmamk_f32 s2, s9, 0xcf800000, s2
	s_cvt_u32_f32 s15, s9
	s_delay_alu instid0(SALU_CYCLE_2) | instskip(NEXT) | instid1(SALU_CYCLE_3)
	s_cvt_u32_f32 s14, s2
	s_mul_u64 s[22:23], s[20:21], s[14:15]
	s_delay_alu instid0(SALU_CYCLE_1)
	s_mul_hi_u32 s27, s14, s23
	s_mul_i32 s26, s14, s23
	s_mul_hi_u32 s24, s14, s22
	s_mul_i32 s9, s15, s22
	s_add_nc_u64 s[26:27], s[24:25], s[26:27]
	s_mul_hi_u32 s2, s15, s22
	s_mul_hi_u32 s28, s15, s23
	s_add_co_u32 s9, s26, s9
	s_add_co_ci_u32 s24, s27, s2
	s_mul_i32 s22, s15, s23
	s_add_co_ci_u32 s23, s28, 0
	s_delay_alu instid0(SALU_CYCLE_1) | instskip(NEXT) | instid1(SALU_CYCLE_1)
	s_add_nc_u64 s[22:23], s[24:25], s[22:23]
	s_add_co_u32 s14, s14, s22
	s_cselect_b32 s2, -1, 0
	s_delay_alu instid0(SALU_CYCLE_1) | instskip(SKIP_1) | instid1(SALU_CYCLE_1)
	s_cmp_lg_u32 s2, 0
	s_add_co_ci_u32 s15, s15, s23
	s_mul_u64 s[20:21], s[20:21], s[14:15]
	s_delay_alu instid0(SALU_CYCLE_1)
	s_mul_hi_u32 s23, s14, s21
	s_mul_i32 s22, s14, s21
	s_mul_hi_u32 s24, s14, s20
	s_mul_i32 s9, s15, s20
	s_add_nc_u64 s[22:23], s[24:25], s[22:23]
	s_mul_hi_u32 s2, s15, s20
	s_mul_hi_u32 s26, s15, s21
	s_add_co_u32 s9, s22, s9
	s_add_co_ci_u32 s24, s23, s2
	s_mul_i32 s20, s15, s21
	s_add_co_ci_u32 s21, s26, 0
	s_delay_alu instid0(SALU_CYCLE_1) | instskip(NEXT) | instid1(SALU_CYCLE_1)
	s_add_nc_u64 s[20:21], s[24:25], s[20:21]
	s_add_co_u32 s2, s14, s20
	s_cselect_b32 s9, -1, 0
	v_mul_hi_u32 v28, v20, s2
	s_cmp_lg_u32 s9, 0
	s_add_co_ci_u32 s24, s15, s21
	s_mov_b64 s[14:15], 0xffffffff
	v_mul_u64_e32 v[24:25], s[24:25], v[20:21]
	s_and_b64 s[14:15], s[2:3], s[14:15]
	v_mul_u64_e32 v[26:27], s[24:25], v[22:23]
	v_mul_u64_e32 v[18:19], s[14:15], v[22:23]
	s_delay_alu instid0(VALU_DEP_3) | instskip(NEXT) | instid1(VALU_DEP_1)
	v_add_nc_u64_e32 v[24:25], v[28:29], v[24:25]
	v_add_co_u32 v14, vcc_lo, v24, v18
	s_delay_alu instid0(VALU_DEP_2) | instskip(SKIP_1) | instid1(VALU_DEP_1)
	v_add_co_ci_u32_e32 v14, vcc_lo, v25, v19, vcc_lo
	v_add_co_ci_u32_e32 v27, vcc_lo, 0, v27, vcc_lo
	v_add_nc_u64_e32 v[14:15], v[14:15], v[26:27]
	s_delay_alu instid0(VALU_DEP_1) | instskip(NEXT) | instid1(VALU_DEP_1)
	v_mul_u64_e32 v[18:19], s[12:13], v[14:15]
	v_sub_nc_u32_e32 v17, v22, v19
	s_delay_alu instid0(VALU_DEP_2) | instskip(NEXT) | instid1(VALU_DEP_1)
	v_sub_co_u32 v18, vcc_lo, v20, v18
	v_sub_co_ci_u32_e64 v22, null, v22, v19, vcc_lo
	s_delay_alu instid0(VALU_DEP_3) | instskip(NEXT) | instid1(VALU_DEP_3)
	v_subrev_co_ci_u32_e64 v17, null, s13, v17, vcc_lo
	v_sub_co_u32 v20, s2, v18, s12
	s_delay_alu instid0(VALU_DEP_1) | instskip(NEXT) | instid1(VALU_DEP_2)
	v_subrev_co_ci_u32_e64 v17, null, 0, v17, s2
	v_cmp_le_u32_e32 vcc_lo, s12, v20
	v_cndmask_b32_e64 v19, 0, -1, vcc_lo
	s_delay_alu instid0(VALU_DEP_3)
	v_cmp_le_u32_e32 vcc_lo, s13, v17
	v_cndmask_b32_e64 v20, 0, -1, vcc_lo
	v_cmp_le_u32_e32 vcc_lo, s12, v18
	v_cndmask_b32_e64 v23, 0, -1, vcc_lo
	;; [unrolled: 2-line block ×3, first 2 shown]
	v_cmp_eq_u32_e32 vcc_lo, s13, v17
	v_cndmask_b32_e32 v17, v20, v19, vcc_lo
	v_cmp_eq_u32_e32 vcc_lo, s13, v22
	v_add_nc_u64_e32 v[18:19], 2, v[14:15]
	v_add_nc_u64_e32 v[20:21], 1, v[14:15]
	v_cndmask_b32_e32 v22, v24, v23, vcc_lo
	v_cmp_ne_u32_e32 vcc_lo, 0, v17
	s_delay_alu instid0(VALU_DEP_2) | instskip(NEXT) | instid1(VALU_DEP_4)
	v_cmp_ne_u32_e64 s2, 0, v22
	v_dual_cndmask_b32 v18, v20, v18 :: v_dual_cndmask_b32 v17, v21, v19
	s_delay_alu instid0(VALU_DEP_1) | instskip(NEXT) | instid1(VALU_DEP_1)
	v_dual_cndmask_b32 v14, v14, v18, s2 :: v_dual_cndmask_b32 v15, v15, v17, s2
	v_dual_mov_b32 v17, v16 :: v_dual_bitop2_b32 v14, v14, v16 bitop3:0x14
	s_delay_alu instid0(VALU_DEP_2) | instskip(NEXT) | instid1(VALU_DEP_1)
	v_xor_b32_e32 v15, v15, v16
	v_sub_nc_u64_e32 v[16:17], v[14:15], v[16:17]
.LBB28_23:
	s_and_not1_saveexec_b32 s2, s3
	s_cbranch_execz .LBB28_25
; %bb.24:
	v_cvt_f32_u32_e32 v14, s40
	s_sub_co_i32 s3, 0, s40
	s_delay_alu instid0(VALU_DEP_1) | instskip(SKIP_1) | instid1(TRANS32_DEP_1)
	v_rcp_iflag_f32_e32 v14, v14
	v_nop
	v_mul_f32_e32 v14, 0x4f7ffffe, v14
	s_delay_alu instid0(VALU_DEP_1) | instskip(NEXT) | instid1(VALU_DEP_1)
	v_cvt_u32_f32_e32 v14, v14
	v_mul_lo_u32 v15, s3, v14
	s_delay_alu instid0(VALU_DEP_1) | instskip(NEXT) | instid1(VALU_DEP_1)
	v_mul_hi_u32 v15, v14, v15
	v_add_nc_u32_e32 v14, v14, v15
	s_delay_alu instid0(VALU_DEP_1) | instskip(NEXT) | instid1(VALU_DEP_1)
	v_mul_hi_u32 v14, v8, v14
	v_mul_lo_u32 v15, v14, s40
	s_delay_alu instid0(VALU_DEP_1) | instskip(NEXT) | instid1(VALU_DEP_1)
	v_dual_add_nc_u32 v16, 1, v14 :: v_dual_sub_nc_u32 v15, v8, v15
	v_subrev_nc_u32_e32 v17, s40, v15
	v_cmp_le_u32_e32 vcc_lo, s40, v15
	s_delay_alu instid0(VALU_DEP_2) | instskip(NEXT) | instid1(VALU_DEP_4)
	v_dual_cndmask_b32 v15, v15, v17, vcc_lo :: v_dual_mov_b32 v17, 0
	v_cndmask_b32_e32 v14, v14, v16, vcc_lo
	s_delay_alu instid0(VALU_DEP_2) | instskip(NEXT) | instid1(VALU_DEP_2)
	v_cmp_le_u32_e32 vcc_lo, s40, v15
	v_add_nc_u32_e32 v16, 1, v14
	s_delay_alu instid0(VALU_DEP_1)
	v_cndmask_b32_e32 v16, v14, v16, vcc_lo
.LBB28_25:
	s_or_b32 exec_lo, exec_lo, s2
	v_mul_u64_e32 v[14:15], s[10:11], v[10:11]
	s_load_b64 s[0:1], s[0:1], 0x80
	s_delay_alu instid0(VALU_DEP_1) | instskip(NEXT) | instid1(VALU_DEP_1)
	v_sub_nc_u64_e32 v[6:7], v[6:7], v[14:15]
	v_mad_nc_u64_u32 v[14:15], v6, s16, s[4:5]
	s_delay_alu instid0(VALU_DEP_1) | instskip(NEXT) | instid1(VALU_DEP_1)
	v_mad_u32 v7, v7, s16, v15
	v_mad_u32 v15, v6, s17, v7
	s_delay_alu instid0(VALU_DEP_1) | instskip(NEXT) | instid1(VALU_DEP_1)
	v_mad_nc_u64_u32 v[6:7], v10, s18, v[14:15]
	v_mad_u32 v7, v11, s18, v7
	s_delay_alu instid0(VALU_DEP_1) | instskip(NEXT) | instid1(VALU_DEP_1)
	v_mad_u32 v7, v10, s19, v7
	v_mad_nc_u64_u32 v[6:7], v2, s36, v[6:7]
	s_delay_alu instid0(VALU_DEP_1) | instskip(NEXT) | instid1(VALU_DEP_1)
	v_mad_u32 v3, v3, s36, v7
	v_mad_u32 v7, v2, s37, v3
	s_delay_alu instid0(VALU_DEP_1) | instskip(NEXT) | instid1(VALU_DEP_1)
	v_mad_nc_u64_u32 v[2:3], v0, s38, v[6:7]
	v_mad_u32 v1, v1, s38, v3
	s_delay_alu instid0(VALU_DEP_1) | instskip(SKIP_4) | instid1(VALU_DEP_1)
	v_mad_u32 v3, v0, s39, v1
	v_mul_u64_e32 v[0:1], s[40:41], v[16:17]
	global_load_u16 v6, v[2:3], off
	v_sub_nc_u64_e32 v[0:1], v[8:9], v[0:1]
	s_wait_xcnt 0x0
	v_mad_nc_u64_u32 v[2:3], v0, s46, s[6:7]
	s_delay_alu instid0(VALU_DEP_1) | instskip(NEXT) | instid1(VALU_DEP_1)
	v_mad_u32 v1, v1, s46, v3
	v_mad_u32 v3, v0, s47, v1
	s_delay_alu instid0(VALU_DEP_1) | instskip(NEXT) | instid1(VALU_DEP_1)
	v_mad_nc_u64_u32 v[0:1], v16, s48, v[2:3]
	v_mad_u32 v1, v17, s48, v1
	s_delay_alu instid0(VALU_DEP_1) | instskip(NEXT) | instid1(VALU_DEP_1)
	v_mad_u32 v1, v16, s49, v1
	v_mad_nc_u64_u32 v[0:1], v4, s50, v[0:1]
	s_delay_alu instid0(VALU_DEP_1) | instskip(NEXT) | instid1(VALU_DEP_1)
	v_mad_u32 v1, v5, s50, v1
	v_mad_u32 v1, v4, s51, v1
	s_wait_kmcnt 0x0
	s_delay_alu instid0(VALU_DEP_1) | instskip(NEXT) | instid1(VALU_DEP_1)
	v_mad_nc_u64_u32 v[0:1], v12, s0, v[0:1]
	v_mad_u32 v1, v13, s0, v1
	s_delay_alu instid0(VALU_DEP_1)
	v_mad_u32 v1, v12, s1, v1
	s_wait_loadcnt 0x0
	v_lshlrev_b32_e32 v2, 16, v6
	global_store_b32 v[0:1], v2, off
.LBB28_26:
	s_endpgm
	.section	.rodata,"a",@progbits
	.p2align	6, 0x0
	.amdhsa_kernel _ZL10cpy_scalarIXadL_ZL12cpy_1_scalarI14__hip_bfloat16fEvPKcPcEEEvS3_S4_lllllllllllllll
		.amdhsa_group_segment_fixed_size 0
		.amdhsa_private_segment_fixed_size 0
		.amdhsa_kernarg_size 392
		.amdhsa_user_sgpr_count 2
		.amdhsa_user_sgpr_dispatch_ptr 0
		.amdhsa_user_sgpr_queue_ptr 0
		.amdhsa_user_sgpr_kernarg_segment_ptr 1
		.amdhsa_user_sgpr_dispatch_id 0
		.amdhsa_user_sgpr_kernarg_preload_length 0
		.amdhsa_user_sgpr_kernarg_preload_offset 0
		.amdhsa_user_sgpr_private_segment_size 0
		.amdhsa_wavefront_size32 1
		.amdhsa_uses_dynamic_stack 0
		.amdhsa_enable_private_segment 0
		.amdhsa_system_sgpr_workgroup_id_x 1
		.amdhsa_system_sgpr_workgroup_id_y 0
		.amdhsa_system_sgpr_workgroup_id_z 0
		.amdhsa_system_sgpr_workgroup_info 0
		.amdhsa_system_vgpr_workitem_id 0
		.amdhsa_next_free_vgpr 30
		.amdhsa_next_free_sgpr 52
		.amdhsa_named_barrier_count 0
		.amdhsa_reserve_vcc 1
		.amdhsa_float_round_mode_32 0
		.amdhsa_float_round_mode_16_64 0
		.amdhsa_float_denorm_mode_32 3
		.amdhsa_float_denorm_mode_16_64 3
		.amdhsa_fp16_overflow 0
		.amdhsa_memory_ordered 1
		.amdhsa_forward_progress 1
		.amdhsa_inst_pref_size 40
		.amdhsa_round_robin_scheduling 0
		.amdhsa_exception_fp_ieee_invalid_op 0
		.amdhsa_exception_fp_denorm_src 0
		.amdhsa_exception_fp_ieee_div_zero 0
		.amdhsa_exception_fp_ieee_overflow 0
		.amdhsa_exception_fp_ieee_underflow 0
		.amdhsa_exception_fp_ieee_inexact 0
		.amdhsa_exception_int_div_zero 0
	.end_amdhsa_kernel
	.section	.text._ZL10cpy_scalarIXadL_ZL12cpy_1_scalarI14__hip_bfloat16fEvPKcPcEEEvS3_S4_lllllllllllllll,"axG",@progbits,_ZL10cpy_scalarIXadL_ZL12cpy_1_scalarI14__hip_bfloat16fEvPKcPcEEEvS3_S4_lllllllllllllll,comdat
.Lfunc_end28:
	.size	_ZL10cpy_scalarIXadL_ZL12cpy_1_scalarI14__hip_bfloat16fEvPKcPcEEEvS3_S4_lllllllllllllll, .Lfunc_end28-_ZL10cpy_scalarIXadL_ZL12cpy_1_scalarI14__hip_bfloat16fEvPKcPcEEEvS3_S4_lllllllllllllll
                                        ; -- End function
	.set _ZL10cpy_scalarIXadL_ZL12cpy_1_scalarI14__hip_bfloat16fEvPKcPcEEEvS3_S4_lllllllllllllll.num_vgpr, 30
	.set _ZL10cpy_scalarIXadL_ZL12cpy_1_scalarI14__hip_bfloat16fEvPKcPcEEEvS3_S4_lllllllllllllll.num_agpr, 0
	.set _ZL10cpy_scalarIXadL_ZL12cpy_1_scalarI14__hip_bfloat16fEvPKcPcEEEvS3_S4_lllllllllllllll.numbered_sgpr, 52
	.set _ZL10cpy_scalarIXadL_ZL12cpy_1_scalarI14__hip_bfloat16fEvPKcPcEEEvS3_S4_lllllllllllllll.num_named_barrier, 0
	.set _ZL10cpy_scalarIXadL_ZL12cpy_1_scalarI14__hip_bfloat16fEvPKcPcEEEvS3_S4_lllllllllllllll.private_seg_size, 0
	.set _ZL10cpy_scalarIXadL_ZL12cpy_1_scalarI14__hip_bfloat16fEvPKcPcEEEvS3_S4_lllllllllllllll.uses_vcc, 1
	.set _ZL10cpy_scalarIXadL_ZL12cpy_1_scalarI14__hip_bfloat16fEvPKcPcEEEvS3_S4_lllllllllllllll.uses_flat_scratch, 0
	.set _ZL10cpy_scalarIXadL_ZL12cpy_1_scalarI14__hip_bfloat16fEvPKcPcEEEvS3_S4_lllllllllllllll.has_dyn_sized_stack, 0
	.set _ZL10cpy_scalarIXadL_ZL12cpy_1_scalarI14__hip_bfloat16fEvPKcPcEEEvS3_S4_lllllllllllllll.has_recursion, 0
	.set _ZL10cpy_scalarIXadL_ZL12cpy_1_scalarI14__hip_bfloat16fEvPKcPcEEEvS3_S4_lllllllllllllll.has_indirect_call, 0
	.section	.AMDGPU.csdata,"",@progbits
; Kernel info:
; codeLenInByte = 5008
; TotalNumSgprs: 54
; NumVgprs: 30
; ScratchSize: 0
; MemoryBound: 0
; FloatMode: 240
; IeeeMode: 1
; LDSByteSize: 0 bytes/workgroup (compile time only)
; SGPRBlocks: 0
; VGPRBlocks: 1
; NumSGPRsForWavesPerEU: 54
; NumVGPRsForWavesPerEU: 30
; NamedBarCnt: 0
; Occupancy: 16
; WaveLimiterHint : 0
; COMPUTE_PGM_RSRC2:SCRATCH_EN: 0
; COMPUTE_PGM_RSRC2:USER_SGPR: 2
; COMPUTE_PGM_RSRC2:TRAP_HANDLER: 0
; COMPUTE_PGM_RSRC2:TGID_X_EN: 1
; COMPUTE_PGM_RSRC2:TGID_Y_EN: 0
; COMPUTE_PGM_RSRC2:TGID_Z_EN: 0
; COMPUTE_PGM_RSRC2:TIDIG_COMP_CNT: 0
	.section	.text._ZL20cpy_scalar_transposeIiEvPKcPclllllllllllllll,"axG",@progbits,_ZL20cpy_scalar_transposeIiEvPKcPclllllllllllllll,comdat
	.globl	_ZL20cpy_scalar_transposeIiEvPKcPclllllllllllllll ; -- Begin function _ZL20cpy_scalar_transposeIiEvPKcPclllllllllllllll
	.p2align	8
	.type	_ZL20cpy_scalar_transposeIiEvPKcPclllllllllllllll,@function
_ZL20cpy_scalar_transposeIiEvPKcPclllllllllllllll: ; @_ZL20cpy_scalar_transposeIiEvPKcPclllllllllllllll
; %bb.0:
	s_clause 0x1
	s_load_b256 s[4:11], s[0:1], 0x0
	s_load_b64 s[12:13], s[0:1], 0x20
	s_wait_kmcnt 0x0
	s_mul_u64 s[14:15], s[12:13], s[10:11]
	s_delay_alu instid0(SALU_CYCLE_1) | instskip(NEXT) | instid1(SALU_CYCLE_1)
	s_or_b64 s[0:1], s[8:9], s[14:15]
	s_and_b64 s[0:1], s[0:1], 0xffffffff00000000
	s_delay_alu instid0(SALU_CYCLE_1)
	s_cmp_lg_u64 s[0:1], 0
	s_cbranch_scc0 .LBB29_127
; %bb.1:
	s_ashr_i32 s0, s15, 31
	s_delay_alu instid0(SALU_CYCLE_1) | instskip(NEXT) | instid1(SALU_CYCLE_1)
	s_mov_b32 s1, s0
	s_add_nc_u64 s[2:3], s[14:15], s[0:1]
	s_delay_alu instid0(SALU_CYCLE_1) | instskip(NEXT) | instid1(SALU_CYCLE_1)
	s_xor_b64 s[16:17], s[2:3], s[0:1]
	s_cvt_f32_u32 s2, s16
	s_cvt_f32_u32 s3, s17
	s_sub_nc_u64 s[20:21], 0, s[16:17]
	s_delay_alu instid0(SALU_CYCLE_2) | instskip(NEXT) | instid1(SALU_CYCLE_3)
	s_fmamk_f32 s2, s3, 0x4f800000, s2
	v_s_rcp_f32 s2, s2
	s_delay_alu instid0(TRANS32_DEP_1) | instskip(NEXT) | instid1(SALU_CYCLE_3)
	s_mul_f32 s2, s2, 0x5f7ffffc
	s_mul_f32 s3, s2, 0x2f800000
	s_delay_alu instid0(SALU_CYCLE_3) | instskip(NEXT) | instid1(SALU_CYCLE_3)
	s_trunc_f32 s3, s3
	s_fmamk_f32 s2, s3, 0xcf800000, s2
	s_cvt_u32_f32 s19, s3
	s_mov_b32 s3, 0
	s_delay_alu instid0(SALU_CYCLE_1) | instskip(NEXT) | instid1(SALU_CYCLE_3)
	s_cvt_u32_f32 s18, s2
	s_mul_u64 s[22:23], s[20:21], s[18:19]
	s_delay_alu instid0(SALU_CYCLE_1)
	s_mul_hi_u32 s25, s18, s23
	s_mul_i32 s24, s18, s23
	s_mul_hi_u32 s2, s18, s22
	s_mul_i32 s27, s19, s22
	s_add_nc_u64 s[24:25], s[2:3], s[24:25]
	s_mul_hi_u32 s26, s19, s22
	s_mul_hi_u32 s28, s19, s23
	s_add_co_u32 s2, s24, s27
	s_add_co_ci_u32 s2, s25, s26
	s_mul_i32 s22, s19, s23
	s_add_co_ci_u32 s23, s28, 0
	s_delay_alu instid0(SALU_CYCLE_1) | instskip(NEXT) | instid1(SALU_CYCLE_1)
	s_add_nc_u64 s[22:23], s[2:3], s[22:23]
	s_add_co_u32 s18, s18, s22
	s_cselect_b32 s2, -1, 0
	s_delay_alu instid0(SALU_CYCLE_1) | instskip(SKIP_1) | instid1(SALU_CYCLE_1)
	s_cmp_lg_u32 s2, 0
	s_add_co_ci_u32 s19, s19, s23
	s_mul_u64 s[20:21], s[20:21], s[18:19]
	s_delay_alu instid0(SALU_CYCLE_1)
	s_mul_hi_u32 s23, s18, s21
	s_mul_i32 s22, s18, s21
	s_mul_hi_u32 s2, s18, s20
	s_mul_i32 s25, s19, s20
	s_add_nc_u64 s[22:23], s[2:3], s[22:23]
	s_mul_hi_u32 s24, s19, s20
	s_mul_hi_u32 s26, s19, s21
	s_add_co_u32 s2, s22, s25
	s_add_co_ci_u32 s2, s23, s24
	s_mul_i32 s20, s19, s21
	s_add_co_ci_u32 s21, s26, 0
	s_delay_alu instid0(SALU_CYCLE_1) | instskip(NEXT) | instid1(SALU_CYCLE_1)
	s_add_nc_u64 s[20:21], s[2:3], s[20:21]
	s_add_co_u32 s24, s18, s20
	s_cselect_b32 s2, -1, 0
	s_delay_alu instid0(SALU_CYCLE_1) | instskip(SKIP_2) | instid1(SALU_CYCLE_1)
	s_cmp_lg_u32 s2, 0
	s_add_co_ci_u32 s25, s19, s21
	s_ashr_i32 s18, s9, 31
	s_mov_b32 s19, s18
	s_delay_alu instid0(SALU_CYCLE_1) | instskip(NEXT) | instid1(SALU_CYCLE_1)
	s_add_nc_u64 s[20:21], s[8:9], s[18:19]
	s_xor_b64 s[20:21], s[20:21], s[18:19]
	s_delay_alu instid0(SALU_CYCLE_1)
	s_mul_hi_u32 s23, s20, s25
	s_mul_i32 s22, s20, s25
	s_mul_hi_u32 s2, s20, s24
	s_mul_i32 s27, s21, s24
	s_add_nc_u64 s[22:23], s[2:3], s[22:23]
	s_mul_hi_u32 s26, s21, s24
	s_mul_hi_u32 s9, s21, s25
	s_add_co_u32 s2, s22, s27
	s_add_co_ci_u32 s2, s23, s26
	s_mul_i32 s24, s21, s25
	s_add_co_ci_u32 s25, s9, 0
	s_delay_alu instid0(SALU_CYCLE_1) | instskip(NEXT) | instid1(SALU_CYCLE_1)
	s_add_nc_u64 s[22:23], s[2:3], s[24:25]
	s_and_b64 s[24:25], s[22:23], 0xffffffff00000000
	s_delay_alu instid0(SALU_CYCLE_1) | instskip(NEXT) | instid1(SALU_CYCLE_1)
	s_or_b32 s24, s24, s22
	s_mul_u64 s[22:23], s[16:17], s[24:25]
	s_delay_alu instid0(SALU_CYCLE_1)
	s_sub_co_u32 s2, s20, s22
	s_cselect_b32 s9, -1, 0
	s_sub_co_i32 s20, s21, s23
	s_cmp_lg_u32 s9, 0
	s_sub_co_ci_u32 s20, s20, s17
	s_sub_co_u32 s22, s2, s16
	s_cselect_b32 s26, -1, 0
	s_delay_alu instid0(SALU_CYCLE_1) | instskip(SKIP_2) | instid1(SALU_CYCLE_1)
	s_cmp_lg_u32 s26, 0
	s_add_nc_u64 s[26:27], s[24:25], 1
	s_sub_co_ci_u32 s20, s20, 0
	s_cmp_ge_u32 s20, s17
	s_cselect_b32 s28, -1, 0
	s_cmp_ge_u32 s22, s16
	s_cselect_b32 s22, -1, 0
	s_cmp_eq_u32 s20, s17
	s_cselect_b32 s20, s22, s28
	s_add_nc_u64 s[28:29], s[24:25], 2
	s_cmp_lg_u32 s20, 0
	s_cselect_b32 s20, s28, s26
	s_cselect_b32 s22, s29, s27
	s_cmp_lg_u32 s9, 0
	s_sub_co_ci_u32 s9, s21, s23
	s_delay_alu instid0(SALU_CYCLE_1)
	s_cmp_ge_u32 s9, s17
	s_cselect_b32 s21, -1, 0
	s_cmp_ge_u32 s2, s16
	s_cselect_b32 s2, -1, 0
	s_cmp_eq_u32 s9, s17
	s_cselect_b32 s2, s2, s21
	s_delay_alu instid0(SALU_CYCLE_1) | instskip(SKIP_3) | instid1(SALU_CYCLE_1)
	s_cmp_lg_u32 s2, 0
	s_cselect_b32 s17, s22, s25
	s_cselect_b32 s16, s20, s24
	s_xor_b64 s[0:1], s[18:19], s[0:1]
	s_xor_b64 s[16:17], s[16:17], s[0:1]
	s_delay_alu instid0(SALU_CYCLE_1)
	s_sub_nc_u64 s[16:17], s[16:17], s[0:1]
	s_cbranch_execnz .LBB29_3
.LBB29_2:
	v_cvt_f32_u32_e32 v1, s14
	s_sub_co_i32 s1, 0, s14
	s_mov_b32 s17, 0
	s_delay_alu instid0(VALU_DEP_1) | instskip(SKIP_1) | instid1(TRANS32_DEP_1)
	v_rcp_iflag_f32_e32 v1, v1
	v_nop
	v_mul_f32_e32 v1, 0x4f7ffffe, v1
	s_delay_alu instid0(VALU_DEP_1) | instskip(NEXT) | instid1(VALU_DEP_1)
	v_cvt_u32_f32_e32 v1, v1
	v_readfirstlane_b32 s0, v1
	s_mul_i32 s1, s1, s0
	s_delay_alu instid0(SALU_CYCLE_1) | instskip(NEXT) | instid1(SALU_CYCLE_1)
	s_mul_hi_u32 s1, s0, s1
	s_add_co_i32 s0, s0, s1
	s_delay_alu instid0(SALU_CYCLE_1) | instskip(NEXT) | instid1(SALU_CYCLE_1)
	s_mul_hi_u32 s0, s8, s0
	s_mul_i32 s1, s0, s14
	s_add_co_i32 s2, s0, 1
	s_sub_co_i32 s1, s8, s1
	s_delay_alu instid0(SALU_CYCLE_1)
	s_sub_co_i32 s3, s1, s14
	s_cmp_ge_u32 s1, s14
	s_cselect_b32 s0, s2, s0
	s_cselect_b32 s1, s3, s1
	s_add_co_i32 s2, s0, 1
	s_cmp_ge_u32 s1, s14
	s_cselect_b32 s16, s2, s0
.LBB29_3:
	s_bfe_u32 s0, ttmp6, 0x40014
	s_lshr_b32 s1, ttmp7, 16
	s_add_co_i32 s0, s0, 1
	s_bfe_u32 s3, ttmp6, 0x40008
	s_mul_i32 s2, s1, s0
	s_getreg_b32 s0, hwreg(HW_REG_IB_STS2, 6, 4)
	s_add_co_i32 s3, s3, s2
	s_cmp_eq_u32 s0, 0
	s_mov_b32 s9, 0
	s_cselect_b32 s1, s1, s3
	s_delay_alu instid0(SALU_CYCLE_1) | instskip(NEXT) | instid1(SALU_CYCLE_1)
	s_lshl_b32 s8, s1, 3
	v_cmp_le_i64_e64 s1, s[16:17], s[8:9]
	s_and_b32 vcc_lo, exec_lo, s1
	s_cbranch_vccnz .LBB29_126
; %bb.4:
	s_bfe_u32 s1, ttmp6, 0x4000c
	s_bfe_u32 s3, ttmp6, 0x40010
	s_add_co_i32 s1, s1, 1
	s_and_b32 s18, ttmp7, 0xffff
	s_add_co_i32 s3, s3, 1
	s_and_b32 s2, ttmp6, 15
	s_mul_i32 s1, ttmp9, s1
	s_mul_i32 s3, s18, s3
	s_bfe_u32 s19, ttmp6, 0x40004
	s_add_co_i32 s2, s2, s1
	s_add_co_i32 s19, s19, s3
	s_cmp_eq_u32 s0, 0
	v_and_b32_e32 v10, 0x3ff, v0
	s_cselect_b32 s0, ttmp9, s2
	s_cselect_b32 s2, s18, s19
	s_lshl_b32 s1, s0, 5
	v_bfe_u32 v8, v0, 10, 10
	v_dual_add_nc_u32 v2, s1, v10 :: v_dual_lshlrev_b32 v1, 2, v10
	s_lshl_b32 s2, s2, 5
	s_delay_alu instid0(VALU_DEP_1) | instid1(SALU_CYCLE_1)
	v_dual_add_nc_u32 v0, s2, v8 :: v_dual_ashrrev_i32 v3, 31, v2
	s_delay_alu instid0(VALU_DEP_2) | instskip(NEXT) | instid1(VALU_DEP_2)
	v_mad_u32_u24 v18, 0x84, v8, v1
	v_cmp_gt_i64_e64 s0, s[12:13], v[2:3]
	v_lshl_add_u64 v[2:3], v[2:3], 2, s[4:5]
	s_mul_u64 s[4:5], s[14:15], s[8:9]
	s_and_saveexec_b32 s3, s0
	s_cbranch_execz .LBB29_13
; %bb.5:
	v_ashrrev_i32_e32 v1, 31, v0
	v_lshl_add_u64 v[4:5], s[4:5], 2, v[2:3]
	s_mov_b32 s9, exec_lo
	s_delay_alu instid0(VALU_DEP_2)
	v_cmpx_gt_i64_e64 s[10:11], v[0:1]
	s_cbranch_execz .LBB29_7
; %bb.6:
	v_mul_u64_e32 v[6:7], s[12:13], v[0:1]
	s_delay_alu instid0(VALU_DEP_1)
	v_lshl_add_u64 v[6:7], v[6:7], 2, v[4:5]
	global_load_b32 v1, v[6:7], off
	s_wait_loadcnt 0x0
	ds_store_b32 v18, v1
.LBB29_7:
	s_or_b32 exec_lo, exec_lo, s9
	v_add_nc_u32_e32 v6, 8, v0
	s_mov_b32 s9, exec_lo
	s_delay_alu instid0(VALU_DEP_1) | instskip(NEXT) | instid1(VALU_DEP_1)
	v_ashrrev_i32_e32 v7, 31, v6
	v_cmpx_gt_i64_e64 s[10:11], v[6:7]
	s_cbranch_execz .LBB29_9
; %bb.8:
	v_mul_u64_e32 v[6:7], s[12:13], v[6:7]
	s_delay_alu instid0(VALU_DEP_1)
	v_lshl_add_u64 v[6:7], v[6:7], 2, v[4:5]
	global_load_b32 v1, v[6:7], off
	s_wait_loadcnt 0x0
	ds_store_b32 v18, v1 offset:1056
.LBB29_9:
	s_or_b32 exec_lo, exec_lo, s9
	v_add_nc_u32_e32 v6, 16, v0
	s_mov_b32 s9, exec_lo
	s_delay_alu instid0(VALU_DEP_1) | instskip(NEXT) | instid1(VALU_DEP_1)
	v_ashrrev_i32_e32 v7, 31, v6
	v_cmpx_gt_i64_e64 s[10:11], v[6:7]
	s_cbranch_execz .LBB29_11
; %bb.10:
	v_mul_u64_e32 v[6:7], s[12:13], v[6:7]
	s_delay_alu instid0(VALU_DEP_1)
	v_lshl_add_u64 v[6:7], v[6:7], 2, v[4:5]
	global_load_b32 v1, v[6:7], off
	s_wait_loadcnt 0x0
	ds_store_b32 v18, v1 offset:2112
.LBB29_11:
	s_or_b32 exec_lo, exec_lo, s9
	v_add_nc_u32_e32 v6, 24, v0
	s_delay_alu instid0(VALU_DEP_1) | instskip(NEXT) | instid1(VALU_DEP_1)
	v_ashrrev_i32_e32 v7, 31, v6
	v_cmp_gt_i64_e32 vcc_lo, s[10:11], v[6:7]
	s_and_b32 exec_lo, exec_lo, vcc_lo
	s_cbranch_execz .LBB29_13
; %bb.12:
	v_mul_u64_e32 v[6:7], s[12:13], v[6:7]
	s_delay_alu instid0(VALU_DEP_1)
	v_lshl_add_u64 v[4:5], v[6:7], 2, v[4:5]
	global_load_b32 v1, v[4:5], off
	s_wait_loadcnt 0x0
	ds_store_b32 v18, v1 offset:3168
.LBB29_13:
	s_or_b32 exec_lo, exec_lo, s3
	v_dual_mov_b32 v7, 0 :: v_dual_add_nc_u32 v6, s2, v10
	v_dual_add_nc_u32 v4, s1, v8 :: v_dual_lshlrev_b32 v1, 2, v8
	s_wait_dscnt 0x0
	s_barrier_signal -1
	s_delay_alu instid0(VALU_DEP_2) | instskip(SKIP_4) | instid1(VALU_DEP_2)
	v_cmp_le_i64_e32 vcc_lo, s[10:11], v[6:7]
	v_cmp_gt_i64_e64 s1, s[10:11], v[6:7]
	v_dual_lshlrev_b32 v6, 2, v6 :: v_dual_ashrrev_i32 v5, 31, v4
	v_mad_u32_u24 v19, 0x84, v10, v1
	s_barrier_wait -1
	v_add_nc_u64_e32 v[8:9], s[6:7], v[6:7]
	s_delay_alu instid0(VALU_DEP_3) | instskip(NEXT) | instid1(VALU_DEP_2)
	v_cmp_gt_i64_e64 s2, s[12:13], v[4:5]
	v_lshl_add_u64 v[14:15], s[4:5], 2, v[8:9]
	s_and_b32 s4, s2, s1
	s_delay_alu instid0(SALU_CYCLE_1)
	s_and_saveexec_b32 s1, s4
	s_cbranch_execz .LBB29_15
; %bb.14:
	v_mul_u64_e32 v[6:7], s[10:11], v[4:5]
	ds_load_b32 v1, v19
	v_lshl_add_u64 v[6:7], v[6:7], 2, v[14:15]
	s_wait_dscnt 0x0
	global_store_b32 v[6:7], v1, off
.LBB29_15:
	s_wait_xcnt 0x0
	s_or_b32 exec_lo, exec_lo, s1
	v_add_nc_u32_e32 v6, 8, v4
	s_xor_b32 s2, vcc_lo, -1
	s_delay_alu instid0(VALU_DEP_1) | instskip(NEXT) | instid1(VALU_DEP_1)
	v_ashrrev_i32_e32 v7, 31, v6
	v_cmp_gt_i64_e64 s1, s[12:13], v[6:7]
	s_and_b32 s1, s1, s2
	s_delay_alu instid0(SALU_CYCLE_1)
	s_and_saveexec_b32 s3, s1
	s_cbranch_execz .LBB29_17
; %bb.16:
	v_mul_u64_e32 v[10:11], s[10:11], v[6:7]
	ds_load_b32 v1, v19 offset:32
	v_lshl_add_u64 v[10:11], v[10:11], 2, v[14:15]
	s_wait_dscnt 0x0
	global_store_b32 v[10:11], v1, off
.LBB29_17:
	s_wait_xcnt 0x0
	s_or_b32 exec_lo, exec_lo, s3
	v_add_nc_u32_e32 v10, 16, v4
	s_delay_alu instid0(VALU_DEP_1) | instskip(NEXT) | instid1(VALU_DEP_1)
	v_ashrrev_i32_e32 v11, 31, v10
	v_cmp_gt_i64_e32 vcc_lo, s[12:13], v[10:11]
	s_and_b32 s5, vcc_lo, s2
	s_delay_alu instid0(SALU_CYCLE_1)
	s_and_saveexec_b32 s3, s5
	s_cbranch_execz .LBB29_19
; %bb.18:
	v_mul_u64_e32 v[12:13], s[10:11], v[10:11]
	ds_load_b32 v1, v19 offset:64
	v_lshl_add_u64 v[12:13], v[12:13], 2, v[14:15]
	s_wait_dscnt 0x0
	global_store_b32 v[12:13], v1, off
.LBB29_19:
	s_wait_xcnt 0x0
	s_or_b32 exec_lo, exec_lo, s3
	v_add_nc_u32_e32 v12, 24, v4
	s_delay_alu instid0(VALU_DEP_1) | instskip(NEXT) | instid1(VALU_DEP_1)
	v_ashrrev_i32_e32 v13, 31, v12
	v_cmp_gt_i64_e32 vcc_lo, s[12:13], v[12:13]
	s_and_b32 s6, vcc_lo, s2
	s_delay_alu instid0(SALU_CYCLE_1)
	s_and_saveexec_b32 s2, s6
	s_cbranch_execz .LBB29_21
; %bb.20:
	v_mul_u64_e32 v[16:17], s[10:11], v[12:13]
	ds_load_b32 v1, v19 offset:96
	v_lshl_add_u64 v[14:15], v[16:17], 2, v[14:15]
	s_wait_dscnt 0x0
	global_store_b32 v[14:15], v1, off
.LBB29_21:
	s_wait_xcnt 0x0
	s_or_b32 exec_lo, exec_lo, s2
	s_or_b32 s2, s8, 1
	s_mov_b32 s3, 0
	s_delay_alu instid0(SALU_CYCLE_1)
	v_cmp_le_u64_e64 s7, s[16:17], s[2:3]
	s_and_b32 vcc_lo, exec_lo, s7
	s_cbranch_vccnz .LBB29_126
; %bb.22:
	s_mul_u64 s[2:3], s[14:15], s[2:3]
	s_and_saveexec_b32 s7, s0
	s_cbranch_execz .LBB29_31
; %bb.23:
	v_ashrrev_i32_e32 v1, 31, v0
	v_lshl_add_u64 v[14:15], s[2:3], 2, v[2:3]
	s_mov_b32 s9, exec_lo
	s_delay_alu instid0(VALU_DEP_2)
	v_cmpx_gt_i64_e64 s[10:11], v[0:1]
	s_cbranch_execz .LBB29_25
; %bb.24:
	v_mul_u64_e32 v[16:17], s[12:13], v[0:1]
	s_delay_alu instid0(VALU_DEP_1)
	v_lshl_add_u64 v[16:17], v[16:17], 2, v[14:15]
	global_load_b32 v1, v[16:17], off
	s_wait_loadcnt 0x0
	ds_store_b32 v18, v1 offset:4224
.LBB29_25:
	s_wait_xcnt 0x0
	s_or_b32 exec_lo, exec_lo, s9
	v_add_nc_u32_e32 v16, 8, v0
	s_mov_b32 s9, exec_lo
	s_delay_alu instid0(VALU_DEP_1) | instskip(NEXT) | instid1(VALU_DEP_1)
	v_ashrrev_i32_e32 v17, 31, v16
	v_cmpx_gt_i64_e64 s[10:11], v[16:17]
	s_cbranch_execz .LBB29_27
; %bb.26:
	v_mul_u64_e32 v[16:17], s[12:13], v[16:17]
	s_delay_alu instid0(VALU_DEP_1)
	v_lshl_add_u64 v[16:17], v[16:17], 2, v[14:15]
	global_load_b32 v1, v[16:17], off
	s_wait_loadcnt 0x0
	ds_store_b32 v18, v1 offset:5280
.LBB29_27:
	s_wait_xcnt 0x0
	s_or_b32 exec_lo, exec_lo, s9
	v_add_nc_u32_e32 v16, 16, v0
	s_mov_b32 s9, exec_lo
	s_delay_alu instid0(VALU_DEP_1) | instskip(NEXT) | instid1(VALU_DEP_1)
	v_ashrrev_i32_e32 v17, 31, v16
	v_cmpx_gt_i64_e64 s[10:11], v[16:17]
	s_cbranch_execz .LBB29_29
; %bb.28:
	v_mul_u64_e32 v[16:17], s[12:13], v[16:17]
	s_delay_alu instid0(VALU_DEP_1)
	v_lshl_add_u64 v[16:17], v[16:17], 2, v[14:15]
	global_load_b32 v1, v[16:17], off
	s_wait_loadcnt 0x0
	ds_store_b32 v18, v1 offset:6336
.LBB29_29:
	s_wait_xcnt 0x0
	s_or_b32 exec_lo, exec_lo, s9
	v_add_nc_u32_e32 v16, 24, v0
	s_delay_alu instid0(VALU_DEP_1) | instskip(NEXT) | instid1(VALU_DEP_1)
	v_ashrrev_i32_e32 v17, 31, v16
	v_cmp_gt_i64_e32 vcc_lo, s[10:11], v[16:17]
	s_and_b32 exec_lo, exec_lo, vcc_lo
	s_cbranch_execz .LBB29_31
; %bb.30:
	v_mul_u64_e32 v[16:17], s[12:13], v[16:17]
	s_delay_alu instid0(VALU_DEP_1)
	v_lshl_add_u64 v[14:15], v[16:17], 2, v[14:15]
	global_load_b32 v1, v[14:15], off
	s_wait_loadcnt 0x0
	ds_store_b32 v18, v1 offset:7392
.LBB29_31:
	s_wait_xcnt 0x0
	s_or_b32 exec_lo, exec_lo, s7
	v_lshl_add_u64 v[14:15], s[2:3], 2, v[8:9]
	s_wait_storecnt_dscnt 0x0
	s_barrier_signal -1
	s_barrier_wait -1
	s_and_saveexec_b32 s2, s4
	s_cbranch_execnz .LBB29_128
; %bb.32:
	s_or_b32 exec_lo, exec_lo, s2
	s_and_saveexec_b32 s2, s1
	s_cbranch_execnz .LBB29_129
.LBB29_33:
	s_or_b32 exec_lo, exec_lo, s2
	s_and_saveexec_b32 s2, s5
	s_cbranch_execnz .LBB29_130
.LBB29_34:
	s_or_b32 exec_lo, exec_lo, s2
	s_and_saveexec_b32 s2, s6
	s_cbranch_execz .LBB29_36
.LBB29_35:
	v_mul_u64_e32 v[16:17], s[10:11], v[12:13]
	ds_load_b32 v1, v19 offset:4320
	v_lshl_add_u64 v[14:15], v[16:17], 2, v[14:15]
	s_wait_dscnt 0x0
	global_store_b32 v[14:15], v1, off
.LBB29_36:
	s_wait_xcnt 0x0
	s_or_b32 exec_lo, exec_lo, s2
	s_or_b32 s2, s8, 2
	s_mov_b32 s3, 0
	s_delay_alu instid0(SALU_CYCLE_1)
	v_cmp_le_u64_e64 s7, s[16:17], s[2:3]
	s_and_b32 vcc_lo, exec_lo, s7
	s_cbranch_vccnz .LBB29_126
; %bb.37:
	s_mul_u64 s[2:3], s[14:15], s[2:3]
	s_and_saveexec_b32 s7, s0
	s_cbranch_execz .LBB29_46
; %bb.38:
	v_ashrrev_i32_e32 v1, 31, v0
	v_lshl_add_u64 v[14:15], s[2:3], 2, v[2:3]
	s_mov_b32 s9, exec_lo
	s_delay_alu instid0(VALU_DEP_2)
	v_cmpx_gt_i64_e64 s[10:11], v[0:1]
	s_cbranch_execz .LBB29_40
; %bb.39:
	v_mul_u64_e32 v[16:17], s[12:13], v[0:1]
	s_delay_alu instid0(VALU_DEP_1)
	v_lshl_add_u64 v[16:17], v[16:17], 2, v[14:15]
	global_load_b32 v1, v[16:17], off
	s_wait_loadcnt 0x0
	ds_store_b32 v18, v1
.LBB29_40:
	s_wait_xcnt 0x0
	s_or_b32 exec_lo, exec_lo, s9
	v_add_nc_u32_e32 v16, 8, v0
	s_mov_b32 s9, exec_lo
	s_delay_alu instid0(VALU_DEP_1) | instskip(NEXT) | instid1(VALU_DEP_1)
	v_ashrrev_i32_e32 v17, 31, v16
	v_cmpx_gt_i64_e64 s[10:11], v[16:17]
	s_cbranch_execz .LBB29_42
; %bb.41:
	v_mul_u64_e32 v[16:17], s[12:13], v[16:17]
	s_delay_alu instid0(VALU_DEP_1)
	v_lshl_add_u64 v[16:17], v[16:17], 2, v[14:15]
	global_load_b32 v1, v[16:17], off
	s_wait_loadcnt 0x0
	ds_store_b32 v18, v1 offset:1056
.LBB29_42:
	s_wait_xcnt 0x0
	s_or_b32 exec_lo, exec_lo, s9
	v_add_nc_u32_e32 v16, 16, v0
	s_mov_b32 s9, exec_lo
	s_delay_alu instid0(VALU_DEP_1) | instskip(NEXT) | instid1(VALU_DEP_1)
	v_ashrrev_i32_e32 v17, 31, v16
	v_cmpx_gt_i64_e64 s[10:11], v[16:17]
	s_cbranch_execz .LBB29_44
; %bb.43:
	v_mul_u64_e32 v[16:17], s[12:13], v[16:17]
	s_delay_alu instid0(VALU_DEP_1)
	v_lshl_add_u64 v[16:17], v[16:17], 2, v[14:15]
	global_load_b32 v1, v[16:17], off
	s_wait_loadcnt 0x0
	ds_store_b32 v18, v1 offset:2112
.LBB29_44:
	s_wait_xcnt 0x0
	s_or_b32 exec_lo, exec_lo, s9
	v_add_nc_u32_e32 v16, 24, v0
	s_delay_alu instid0(VALU_DEP_1) | instskip(NEXT) | instid1(VALU_DEP_1)
	v_ashrrev_i32_e32 v17, 31, v16
	v_cmp_gt_i64_e32 vcc_lo, s[10:11], v[16:17]
	s_and_b32 exec_lo, exec_lo, vcc_lo
	s_cbranch_execz .LBB29_46
; %bb.45:
	v_mul_u64_e32 v[16:17], s[12:13], v[16:17]
	s_delay_alu instid0(VALU_DEP_1)
	v_lshl_add_u64 v[14:15], v[16:17], 2, v[14:15]
	global_load_b32 v1, v[14:15], off
	s_wait_loadcnt 0x0
	ds_store_b32 v18, v1 offset:3168
.LBB29_46:
	s_wait_xcnt 0x0
	s_or_b32 exec_lo, exec_lo, s7
	v_lshl_add_u64 v[14:15], s[2:3], 2, v[8:9]
	s_wait_storecnt_dscnt 0x0
	s_barrier_signal -1
	s_barrier_wait -1
	s_and_saveexec_b32 s2, s4
	s_cbranch_execnz .LBB29_131
; %bb.47:
	s_or_b32 exec_lo, exec_lo, s2
	s_and_saveexec_b32 s2, s1
	s_cbranch_execnz .LBB29_132
.LBB29_48:
	s_or_b32 exec_lo, exec_lo, s2
	s_and_saveexec_b32 s2, s5
	s_cbranch_execnz .LBB29_133
.LBB29_49:
	s_or_b32 exec_lo, exec_lo, s2
	s_and_saveexec_b32 s2, s6
	s_cbranch_execz .LBB29_51
.LBB29_50:
	v_mul_u64_e32 v[16:17], s[10:11], v[12:13]
	ds_load_b32 v1, v19 offset:96
	v_lshl_add_u64 v[14:15], v[16:17], 2, v[14:15]
	s_wait_dscnt 0x0
	global_store_b32 v[14:15], v1, off
.LBB29_51:
	s_wait_xcnt 0x0
	s_or_b32 exec_lo, exec_lo, s2
	s_or_b32 s2, s8, 3
	s_mov_b32 s3, 0
	s_delay_alu instid0(SALU_CYCLE_1)
	v_cmp_le_u64_e64 s7, s[16:17], s[2:3]
	s_and_b32 vcc_lo, exec_lo, s7
	s_cbranch_vccnz .LBB29_126
; %bb.52:
	s_mul_u64 s[2:3], s[14:15], s[2:3]
	s_and_saveexec_b32 s7, s0
	s_cbranch_execz .LBB29_61
; %bb.53:
	v_ashrrev_i32_e32 v1, 31, v0
	v_lshl_add_u64 v[14:15], s[2:3], 2, v[2:3]
	s_mov_b32 s9, exec_lo
	s_delay_alu instid0(VALU_DEP_2)
	v_cmpx_gt_i64_e64 s[10:11], v[0:1]
	s_cbranch_execz .LBB29_55
; %bb.54:
	v_mul_u64_e32 v[16:17], s[12:13], v[0:1]
	s_delay_alu instid0(VALU_DEP_1)
	v_lshl_add_u64 v[16:17], v[16:17], 2, v[14:15]
	global_load_b32 v1, v[16:17], off
	s_wait_loadcnt 0x0
	ds_store_b32 v18, v1 offset:4224
.LBB29_55:
	s_wait_xcnt 0x0
	s_or_b32 exec_lo, exec_lo, s9
	v_add_nc_u32_e32 v16, 8, v0
	s_mov_b32 s9, exec_lo
	s_delay_alu instid0(VALU_DEP_1) | instskip(NEXT) | instid1(VALU_DEP_1)
	v_ashrrev_i32_e32 v17, 31, v16
	v_cmpx_gt_i64_e64 s[10:11], v[16:17]
	s_cbranch_execz .LBB29_57
; %bb.56:
	v_mul_u64_e32 v[16:17], s[12:13], v[16:17]
	s_delay_alu instid0(VALU_DEP_1)
	v_lshl_add_u64 v[16:17], v[16:17], 2, v[14:15]
	global_load_b32 v1, v[16:17], off
	s_wait_loadcnt 0x0
	ds_store_b32 v18, v1 offset:5280
.LBB29_57:
	s_wait_xcnt 0x0
	s_or_b32 exec_lo, exec_lo, s9
	v_add_nc_u32_e32 v16, 16, v0
	s_mov_b32 s9, exec_lo
	s_delay_alu instid0(VALU_DEP_1) | instskip(NEXT) | instid1(VALU_DEP_1)
	v_ashrrev_i32_e32 v17, 31, v16
	v_cmpx_gt_i64_e64 s[10:11], v[16:17]
	s_cbranch_execz .LBB29_59
; %bb.58:
	v_mul_u64_e32 v[16:17], s[12:13], v[16:17]
	s_delay_alu instid0(VALU_DEP_1)
	v_lshl_add_u64 v[16:17], v[16:17], 2, v[14:15]
	global_load_b32 v1, v[16:17], off
	s_wait_loadcnt 0x0
	ds_store_b32 v18, v1 offset:6336
.LBB29_59:
	s_wait_xcnt 0x0
	s_or_b32 exec_lo, exec_lo, s9
	v_add_nc_u32_e32 v16, 24, v0
	s_delay_alu instid0(VALU_DEP_1) | instskip(NEXT) | instid1(VALU_DEP_1)
	v_ashrrev_i32_e32 v17, 31, v16
	v_cmp_gt_i64_e32 vcc_lo, s[10:11], v[16:17]
	s_and_b32 exec_lo, exec_lo, vcc_lo
	s_cbranch_execz .LBB29_61
; %bb.60:
	v_mul_u64_e32 v[16:17], s[12:13], v[16:17]
	s_delay_alu instid0(VALU_DEP_1)
	v_lshl_add_u64 v[14:15], v[16:17], 2, v[14:15]
	global_load_b32 v1, v[14:15], off
	s_wait_loadcnt 0x0
	ds_store_b32 v18, v1 offset:7392
.LBB29_61:
	s_wait_xcnt 0x0
	s_or_b32 exec_lo, exec_lo, s7
	v_lshl_add_u64 v[14:15], s[2:3], 2, v[8:9]
	s_wait_storecnt_dscnt 0x0
	s_barrier_signal -1
	s_barrier_wait -1
	s_and_saveexec_b32 s2, s4
	s_cbranch_execnz .LBB29_134
; %bb.62:
	s_or_b32 exec_lo, exec_lo, s2
	s_and_saveexec_b32 s2, s1
	s_cbranch_execnz .LBB29_135
.LBB29_63:
	s_or_b32 exec_lo, exec_lo, s2
	s_and_saveexec_b32 s2, s5
	s_cbranch_execnz .LBB29_136
.LBB29_64:
	s_or_b32 exec_lo, exec_lo, s2
	s_and_saveexec_b32 s2, s6
	s_cbranch_execz .LBB29_66
.LBB29_65:
	v_mul_u64_e32 v[16:17], s[10:11], v[12:13]
	ds_load_b32 v1, v19 offset:4320
	v_lshl_add_u64 v[14:15], v[16:17], 2, v[14:15]
	s_wait_dscnt 0x0
	global_store_b32 v[14:15], v1, off
.LBB29_66:
	s_wait_xcnt 0x0
	s_or_b32 exec_lo, exec_lo, s2
	s_or_b32 s2, s8, 4
	s_mov_b32 s3, 0
	s_delay_alu instid0(SALU_CYCLE_1)
	v_cmp_le_u64_e64 s7, s[16:17], s[2:3]
	s_and_b32 vcc_lo, exec_lo, s7
	s_cbranch_vccnz .LBB29_126
; %bb.67:
	s_mul_u64 s[2:3], s[14:15], s[2:3]
	s_and_saveexec_b32 s7, s0
	s_cbranch_execz .LBB29_76
; %bb.68:
	v_ashrrev_i32_e32 v1, 31, v0
	v_lshl_add_u64 v[14:15], s[2:3], 2, v[2:3]
	s_mov_b32 s9, exec_lo
	s_delay_alu instid0(VALU_DEP_2)
	v_cmpx_gt_i64_e64 s[10:11], v[0:1]
	s_cbranch_execz .LBB29_70
; %bb.69:
	v_mul_u64_e32 v[16:17], s[12:13], v[0:1]
	s_delay_alu instid0(VALU_DEP_1)
	v_lshl_add_u64 v[16:17], v[16:17], 2, v[14:15]
	global_load_b32 v1, v[16:17], off
	s_wait_loadcnt 0x0
	ds_store_b32 v18, v1
.LBB29_70:
	s_wait_xcnt 0x0
	s_or_b32 exec_lo, exec_lo, s9
	v_add_nc_u32_e32 v16, 8, v0
	s_mov_b32 s9, exec_lo
	s_delay_alu instid0(VALU_DEP_1) | instskip(NEXT) | instid1(VALU_DEP_1)
	v_ashrrev_i32_e32 v17, 31, v16
	v_cmpx_gt_i64_e64 s[10:11], v[16:17]
	s_cbranch_execz .LBB29_72
; %bb.71:
	v_mul_u64_e32 v[16:17], s[12:13], v[16:17]
	s_delay_alu instid0(VALU_DEP_1)
	v_lshl_add_u64 v[16:17], v[16:17], 2, v[14:15]
	global_load_b32 v1, v[16:17], off
	s_wait_loadcnt 0x0
	ds_store_b32 v18, v1 offset:1056
.LBB29_72:
	s_wait_xcnt 0x0
	s_or_b32 exec_lo, exec_lo, s9
	v_add_nc_u32_e32 v16, 16, v0
	s_mov_b32 s9, exec_lo
	s_delay_alu instid0(VALU_DEP_1) | instskip(NEXT) | instid1(VALU_DEP_1)
	v_ashrrev_i32_e32 v17, 31, v16
	v_cmpx_gt_i64_e64 s[10:11], v[16:17]
	s_cbranch_execz .LBB29_74
; %bb.73:
	v_mul_u64_e32 v[16:17], s[12:13], v[16:17]
	s_delay_alu instid0(VALU_DEP_1)
	v_lshl_add_u64 v[16:17], v[16:17], 2, v[14:15]
	global_load_b32 v1, v[16:17], off
	s_wait_loadcnt 0x0
	ds_store_b32 v18, v1 offset:2112
.LBB29_74:
	s_wait_xcnt 0x0
	s_or_b32 exec_lo, exec_lo, s9
	v_add_nc_u32_e32 v16, 24, v0
	s_delay_alu instid0(VALU_DEP_1) | instskip(NEXT) | instid1(VALU_DEP_1)
	v_ashrrev_i32_e32 v17, 31, v16
	v_cmp_gt_i64_e32 vcc_lo, s[10:11], v[16:17]
	s_and_b32 exec_lo, exec_lo, vcc_lo
	s_cbranch_execz .LBB29_76
; %bb.75:
	v_mul_u64_e32 v[16:17], s[12:13], v[16:17]
	s_delay_alu instid0(VALU_DEP_1)
	v_lshl_add_u64 v[14:15], v[16:17], 2, v[14:15]
	global_load_b32 v1, v[14:15], off
	s_wait_loadcnt 0x0
	ds_store_b32 v18, v1 offset:3168
.LBB29_76:
	s_wait_xcnt 0x0
	s_or_b32 exec_lo, exec_lo, s7
	v_lshl_add_u64 v[14:15], s[2:3], 2, v[8:9]
	s_wait_storecnt_dscnt 0x0
	s_barrier_signal -1
	s_barrier_wait -1
	s_and_saveexec_b32 s2, s4
	s_cbranch_execnz .LBB29_137
; %bb.77:
	s_or_b32 exec_lo, exec_lo, s2
	s_and_saveexec_b32 s2, s1
	s_cbranch_execnz .LBB29_138
.LBB29_78:
	s_or_b32 exec_lo, exec_lo, s2
	s_and_saveexec_b32 s2, s5
	s_cbranch_execnz .LBB29_139
.LBB29_79:
	s_or_b32 exec_lo, exec_lo, s2
	s_and_saveexec_b32 s2, s6
	s_cbranch_execz .LBB29_81
.LBB29_80:
	v_mul_u64_e32 v[16:17], s[10:11], v[12:13]
	ds_load_b32 v1, v19 offset:96
	v_lshl_add_u64 v[14:15], v[16:17], 2, v[14:15]
	s_wait_dscnt 0x0
	global_store_b32 v[14:15], v1, off
.LBB29_81:
	s_wait_xcnt 0x0
	s_or_b32 exec_lo, exec_lo, s2
	s_or_b32 s2, s8, 5
	s_mov_b32 s3, 0
	s_delay_alu instid0(SALU_CYCLE_1)
	v_cmp_le_u64_e64 s7, s[16:17], s[2:3]
	s_and_b32 vcc_lo, exec_lo, s7
	s_cbranch_vccnz .LBB29_126
; %bb.82:
	s_mul_u64 s[2:3], s[14:15], s[2:3]
	s_and_saveexec_b32 s7, s0
	s_cbranch_execz .LBB29_91
; %bb.83:
	v_ashrrev_i32_e32 v1, 31, v0
	v_lshl_add_u64 v[14:15], s[2:3], 2, v[2:3]
	s_mov_b32 s9, exec_lo
	s_delay_alu instid0(VALU_DEP_2)
	v_cmpx_gt_i64_e64 s[10:11], v[0:1]
	s_cbranch_execz .LBB29_85
; %bb.84:
	v_mul_u64_e32 v[16:17], s[12:13], v[0:1]
	s_delay_alu instid0(VALU_DEP_1)
	v_lshl_add_u64 v[16:17], v[16:17], 2, v[14:15]
	global_load_b32 v1, v[16:17], off
	s_wait_loadcnt 0x0
	ds_store_b32 v18, v1 offset:4224
.LBB29_85:
	s_wait_xcnt 0x0
	s_or_b32 exec_lo, exec_lo, s9
	v_add_nc_u32_e32 v16, 8, v0
	s_mov_b32 s9, exec_lo
	s_delay_alu instid0(VALU_DEP_1) | instskip(NEXT) | instid1(VALU_DEP_1)
	v_ashrrev_i32_e32 v17, 31, v16
	v_cmpx_gt_i64_e64 s[10:11], v[16:17]
	s_cbranch_execz .LBB29_87
; %bb.86:
	v_mul_u64_e32 v[16:17], s[12:13], v[16:17]
	s_delay_alu instid0(VALU_DEP_1)
	v_lshl_add_u64 v[16:17], v[16:17], 2, v[14:15]
	global_load_b32 v1, v[16:17], off
	s_wait_loadcnt 0x0
	ds_store_b32 v18, v1 offset:5280
.LBB29_87:
	s_wait_xcnt 0x0
	s_or_b32 exec_lo, exec_lo, s9
	v_add_nc_u32_e32 v16, 16, v0
	s_mov_b32 s9, exec_lo
	s_delay_alu instid0(VALU_DEP_1) | instskip(NEXT) | instid1(VALU_DEP_1)
	v_ashrrev_i32_e32 v17, 31, v16
	v_cmpx_gt_i64_e64 s[10:11], v[16:17]
	s_cbranch_execz .LBB29_89
; %bb.88:
	v_mul_u64_e32 v[16:17], s[12:13], v[16:17]
	s_delay_alu instid0(VALU_DEP_1)
	v_lshl_add_u64 v[16:17], v[16:17], 2, v[14:15]
	global_load_b32 v1, v[16:17], off
	s_wait_loadcnt 0x0
	ds_store_b32 v18, v1 offset:6336
.LBB29_89:
	s_wait_xcnt 0x0
	s_or_b32 exec_lo, exec_lo, s9
	v_add_nc_u32_e32 v16, 24, v0
	s_delay_alu instid0(VALU_DEP_1) | instskip(NEXT) | instid1(VALU_DEP_1)
	v_ashrrev_i32_e32 v17, 31, v16
	v_cmp_gt_i64_e32 vcc_lo, s[10:11], v[16:17]
	s_and_b32 exec_lo, exec_lo, vcc_lo
	s_cbranch_execz .LBB29_91
; %bb.90:
	v_mul_u64_e32 v[16:17], s[12:13], v[16:17]
	s_delay_alu instid0(VALU_DEP_1)
	v_lshl_add_u64 v[14:15], v[16:17], 2, v[14:15]
	global_load_b32 v1, v[14:15], off
	s_wait_loadcnt 0x0
	ds_store_b32 v18, v1 offset:7392
.LBB29_91:
	s_wait_xcnt 0x0
	s_or_b32 exec_lo, exec_lo, s7
	v_lshl_add_u64 v[14:15], s[2:3], 2, v[8:9]
	s_wait_storecnt_dscnt 0x0
	s_barrier_signal -1
	s_barrier_wait -1
	s_and_saveexec_b32 s2, s4
	s_cbranch_execnz .LBB29_140
; %bb.92:
	s_or_b32 exec_lo, exec_lo, s2
	s_and_saveexec_b32 s2, s1
	s_cbranch_execnz .LBB29_141
.LBB29_93:
	s_or_b32 exec_lo, exec_lo, s2
	s_and_saveexec_b32 s2, s5
	s_cbranch_execnz .LBB29_142
.LBB29_94:
	s_or_b32 exec_lo, exec_lo, s2
	s_and_saveexec_b32 s2, s6
	s_cbranch_execz .LBB29_96
.LBB29_95:
	v_mul_u64_e32 v[16:17], s[10:11], v[12:13]
	ds_load_b32 v1, v19 offset:4320
	v_lshl_add_u64 v[14:15], v[16:17], 2, v[14:15]
	s_wait_dscnt 0x0
	global_store_b32 v[14:15], v1, off
.LBB29_96:
	s_wait_xcnt 0x0
	s_or_b32 exec_lo, exec_lo, s2
	s_or_b32 s2, s8, 6
	s_mov_b32 s3, 0
	s_delay_alu instid0(SALU_CYCLE_1)
	v_cmp_le_u64_e64 s7, s[16:17], s[2:3]
	s_and_b32 vcc_lo, exec_lo, s7
	s_cbranch_vccnz .LBB29_126
; %bb.97:
	s_mul_u64 s[2:3], s[14:15], s[2:3]
	s_and_saveexec_b32 s7, s0
	s_cbranch_execz .LBB29_106
; %bb.98:
	v_ashrrev_i32_e32 v1, 31, v0
	v_lshl_add_u64 v[14:15], s[2:3], 2, v[2:3]
	s_mov_b32 s9, exec_lo
	s_delay_alu instid0(VALU_DEP_2)
	v_cmpx_gt_i64_e64 s[10:11], v[0:1]
	s_cbranch_execz .LBB29_100
; %bb.99:
	v_mul_u64_e32 v[16:17], s[12:13], v[0:1]
	s_delay_alu instid0(VALU_DEP_1)
	v_lshl_add_u64 v[16:17], v[16:17], 2, v[14:15]
	global_load_b32 v1, v[16:17], off
	s_wait_loadcnt 0x0
	ds_store_b32 v18, v1
.LBB29_100:
	s_wait_xcnt 0x0
	s_or_b32 exec_lo, exec_lo, s9
	v_add_nc_u32_e32 v16, 8, v0
	s_mov_b32 s9, exec_lo
	s_delay_alu instid0(VALU_DEP_1) | instskip(NEXT) | instid1(VALU_DEP_1)
	v_ashrrev_i32_e32 v17, 31, v16
	v_cmpx_gt_i64_e64 s[10:11], v[16:17]
	s_cbranch_execz .LBB29_102
; %bb.101:
	v_mul_u64_e32 v[16:17], s[12:13], v[16:17]
	s_delay_alu instid0(VALU_DEP_1)
	v_lshl_add_u64 v[16:17], v[16:17], 2, v[14:15]
	global_load_b32 v1, v[16:17], off
	s_wait_loadcnt 0x0
	ds_store_b32 v18, v1 offset:1056
.LBB29_102:
	s_wait_xcnt 0x0
	s_or_b32 exec_lo, exec_lo, s9
	v_add_nc_u32_e32 v16, 16, v0
	s_mov_b32 s9, exec_lo
	s_delay_alu instid0(VALU_DEP_1) | instskip(NEXT) | instid1(VALU_DEP_1)
	v_ashrrev_i32_e32 v17, 31, v16
	v_cmpx_gt_i64_e64 s[10:11], v[16:17]
	s_cbranch_execz .LBB29_104
; %bb.103:
	v_mul_u64_e32 v[16:17], s[12:13], v[16:17]
	s_delay_alu instid0(VALU_DEP_1)
	v_lshl_add_u64 v[16:17], v[16:17], 2, v[14:15]
	global_load_b32 v1, v[16:17], off
	s_wait_loadcnt 0x0
	ds_store_b32 v18, v1 offset:2112
.LBB29_104:
	s_wait_xcnt 0x0
	s_or_b32 exec_lo, exec_lo, s9
	v_add_nc_u32_e32 v16, 24, v0
	s_delay_alu instid0(VALU_DEP_1) | instskip(NEXT) | instid1(VALU_DEP_1)
	v_ashrrev_i32_e32 v17, 31, v16
	v_cmp_gt_i64_e32 vcc_lo, s[10:11], v[16:17]
	s_and_b32 exec_lo, exec_lo, vcc_lo
	s_cbranch_execz .LBB29_106
; %bb.105:
	v_mul_u64_e32 v[16:17], s[12:13], v[16:17]
	s_delay_alu instid0(VALU_DEP_1)
	v_lshl_add_u64 v[14:15], v[16:17], 2, v[14:15]
	global_load_b32 v1, v[14:15], off
	s_wait_loadcnt 0x0
	ds_store_b32 v18, v1 offset:3168
.LBB29_106:
	s_wait_xcnt 0x0
	s_or_b32 exec_lo, exec_lo, s7
	v_lshl_add_u64 v[14:15], s[2:3], 2, v[8:9]
	s_wait_storecnt_dscnt 0x0
	s_barrier_signal -1
	s_barrier_wait -1
	s_and_saveexec_b32 s2, s4
	s_cbranch_execnz .LBB29_143
; %bb.107:
	s_or_b32 exec_lo, exec_lo, s2
	s_and_saveexec_b32 s2, s1
	s_cbranch_execnz .LBB29_144
.LBB29_108:
	s_or_b32 exec_lo, exec_lo, s2
	s_and_saveexec_b32 s2, s5
	s_cbranch_execnz .LBB29_145
.LBB29_109:
	s_or_b32 exec_lo, exec_lo, s2
	s_and_saveexec_b32 s2, s6
	s_cbranch_execz .LBB29_111
.LBB29_110:
	v_mul_u64_e32 v[16:17], s[10:11], v[12:13]
	ds_load_b32 v1, v19 offset:96
	v_lshl_add_u64 v[14:15], v[16:17], 2, v[14:15]
	s_wait_dscnt 0x0
	global_store_b32 v[14:15], v1, off
.LBB29_111:
	s_wait_xcnt 0x0
	s_or_b32 exec_lo, exec_lo, s2
	s_or_b32 s2, s8, 7
	s_mov_b32 s3, 0
	s_delay_alu instid0(SALU_CYCLE_1)
	v_cmp_le_u64_e64 s7, s[16:17], s[2:3]
	s_and_b32 vcc_lo, exec_lo, s7
	s_cbranch_vccnz .LBB29_126
; %bb.112:
	s_mul_u64 s[2:3], s[14:15], s[2:3]
	s_and_saveexec_b32 s7, s0
	s_cbranch_execz .LBB29_121
; %bb.113:
	v_ashrrev_i32_e32 v1, 31, v0
	v_lshl_add_u64 v[2:3], s[2:3], 2, v[2:3]
	s_mov_b32 s0, exec_lo
	s_delay_alu instid0(VALU_DEP_2)
	v_cmpx_gt_i64_e64 s[10:11], v[0:1]
	s_cbranch_execz .LBB29_115
; %bb.114:
	v_mul_u64_e32 v[14:15], s[12:13], v[0:1]
	s_delay_alu instid0(VALU_DEP_1)
	v_lshl_add_u64 v[14:15], v[14:15], 2, v[2:3]
	global_load_b32 v1, v[14:15], off
	s_wait_loadcnt 0x0
	ds_store_b32 v18, v1 offset:4224
.LBB29_115:
	s_wait_xcnt 0x0
	s_or_b32 exec_lo, exec_lo, s0
	v_add_nc_u32_e32 v14, 8, v0
	s_mov_b32 s0, exec_lo
	s_delay_alu instid0(VALU_DEP_1) | instskip(NEXT) | instid1(VALU_DEP_1)
	v_ashrrev_i32_e32 v15, 31, v14
	v_cmpx_gt_i64_e64 s[10:11], v[14:15]
	s_cbranch_execz .LBB29_117
; %bb.116:
	v_mul_u64_e32 v[14:15], s[12:13], v[14:15]
	s_delay_alu instid0(VALU_DEP_1)
	v_lshl_add_u64 v[14:15], v[14:15], 2, v[2:3]
	global_load_b32 v1, v[14:15], off
	s_wait_loadcnt 0x0
	ds_store_b32 v18, v1 offset:5280
.LBB29_117:
	s_wait_xcnt 0x0
	s_or_b32 exec_lo, exec_lo, s0
	v_add_nc_u32_e32 v14, 16, v0
	s_mov_b32 s0, exec_lo
	s_delay_alu instid0(VALU_DEP_1) | instskip(NEXT) | instid1(VALU_DEP_1)
	v_ashrrev_i32_e32 v15, 31, v14
	v_cmpx_gt_i64_e64 s[10:11], v[14:15]
	s_cbranch_execz .LBB29_119
; %bb.118:
	v_mul_u64_e32 v[14:15], s[12:13], v[14:15]
	s_delay_alu instid0(VALU_DEP_1)
	v_lshl_add_u64 v[14:15], v[14:15], 2, v[2:3]
	global_load_b32 v1, v[14:15], off
	s_wait_loadcnt 0x0
	ds_store_b32 v18, v1 offset:6336
.LBB29_119:
	s_wait_xcnt 0x0
	s_or_b32 exec_lo, exec_lo, s0
	v_add_nc_u32_e32 v0, 24, v0
	s_delay_alu instid0(VALU_DEP_1) | instskip(NEXT) | instid1(VALU_DEP_1)
	v_ashrrev_i32_e32 v1, 31, v0
	v_cmp_gt_i64_e32 vcc_lo, s[10:11], v[0:1]
	s_and_b32 exec_lo, exec_lo, vcc_lo
	s_cbranch_execz .LBB29_121
; %bb.120:
	v_mul_u64_e32 v[0:1], s[12:13], v[0:1]
	s_delay_alu instid0(VALU_DEP_1)
	v_lshl_add_u64 v[0:1], v[0:1], 2, v[2:3]
	global_load_b32 v0, v[0:1], off
	s_wait_loadcnt 0x0
	ds_store_b32 v18, v0 offset:7392
.LBB29_121:
	s_wait_xcnt 0x0
	s_or_b32 exec_lo, exec_lo, s7
	v_lshl_add_u64 v[0:1], s[2:3], 2, v[8:9]
	s_wait_storecnt_dscnt 0x0
	s_barrier_signal -1
	s_barrier_wait -1
	s_and_saveexec_b32 s0, s4
	s_cbranch_execnz .LBB29_146
; %bb.122:
	s_or_b32 exec_lo, exec_lo, s0
	s_and_saveexec_b32 s0, s1
	s_cbranch_execnz .LBB29_147
.LBB29_123:
	s_or_b32 exec_lo, exec_lo, s0
	s_and_saveexec_b32 s0, s5
	s_cbranch_execnz .LBB29_148
.LBB29_124:
	s_or_b32 exec_lo, exec_lo, s0
	s_and_saveexec_b32 s0, s6
	s_cbranch_execz .LBB29_126
.LBB29_125:
	v_mul_u64_e32 v[2:3], s[10:11], v[12:13]
	ds_load_b32 v4, v19 offset:4320
	v_lshl_add_u64 v[0:1], v[2:3], 2, v[0:1]
	s_wait_dscnt 0x0
	global_store_b32 v[0:1], v4, off
.LBB29_126:
	s_endpgm
.LBB29_127:
                                        ; implicit-def: $sgpr16_sgpr17
	s_branch .LBB29_2
.LBB29_128:
	v_mul_u64_e32 v[16:17], s[10:11], v[4:5]
	ds_load_b32 v1, v19 offset:4224
	v_lshl_add_u64 v[16:17], v[16:17], 2, v[14:15]
	s_wait_dscnt 0x0
	global_store_b32 v[16:17], v1, off
	s_wait_xcnt 0x0
	s_or_b32 exec_lo, exec_lo, s2
	s_and_saveexec_b32 s2, s1
	s_cbranch_execz .LBB29_33
.LBB29_129:
	v_mul_u64_e32 v[16:17], s[10:11], v[6:7]
	ds_load_b32 v1, v19 offset:4256
	v_lshl_add_u64 v[16:17], v[16:17], 2, v[14:15]
	s_wait_dscnt 0x0
	global_store_b32 v[16:17], v1, off
	s_wait_xcnt 0x0
	s_or_b32 exec_lo, exec_lo, s2
	s_and_saveexec_b32 s2, s5
	s_cbranch_execz .LBB29_34
.LBB29_130:
	v_mul_u64_e32 v[16:17], s[10:11], v[10:11]
	ds_load_b32 v1, v19 offset:4288
	v_lshl_add_u64 v[16:17], v[16:17], 2, v[14:15]
	s_wait_dscnt 0x0
	global_store_b32 v[16:17], v1, off
	s_wait_xcnt 0x0
	s_or_b32 exec_lo, exec_lo, s2
	s_and_saveexec_b32 s2, s6
	s_cbranch_execnz .LBB29_35
	s_branch .LBB29_36
.LBB29_131:
	v_mul_u64_e32 v[16:17], s[10:11], v[4:5]
	ds_load_b32 v1, v19
	v_lshl_add_u64 v[16:17], v[16:17], 2, v[14:15]
	s_wait_dscnt 0x0
	global_store_b32 v[16:17], v1, off
	s_wait_xcnt 0x0
	s_or_b32 exec_lo, exec_lo, s2
	s_and_saveexec_b32 s2, s1
	s_cbranch_execz .LBB29_48
.LBB29_132:
	v_mul_u64_e32 v[16:17], s[10:11], v[6:7]
	ds_load_b32 v1, v19 offset:32
	v_lshl_add_u64 v[16:17], v[16:17], 2, v[14:15]
	s_wait_dscnt 0x0
	global_store_b32 v[16:17], v1, off
	s_wait_xcnt 0x0
	s_or_b32 exec_lo, exec_lo, s2
	s_and_saveexec_b32 s2, s5
	s_cbranch_execz .LBB29_49
.LBB29_133:
	v_mul_u64_e32 v[16:17], s[10:11], v[10:11]
	ds_load_b32 v1, v19 offset:64
	v_lshl_add_u64 v[16:17], v[16:17], 2, v[14:15]
	s_wait_dscnt 0x0
	global_store_b32 v[16:17], v1, off
	s_wait_xcnt 0x0
	s_or_b32 exec_lo, exec_lo, s2
	s_and_saveexec_b32 s2, s6
	s_cbranch_execnz .LBB29_50
	s_branch .LBB29_51
.LBB29_134:
	v_mul_u64_e32 v[16:17], s[10:11], v[4:5]
	ds_load_b32 v1, v19 offset:4224
	v_lshl_add_u64 v[16:17], v[16:17], 2, v[14:15]
	s_wait_dscnt 0x0
	global_store_b32 v[16:17], v1, off
	s_wait_xcnt 0x0
	s_or_b32 exec_lo, exec_lo, s2
	s_and_saveexec_b32 s2, s1
	s_cbranch_execz .LBB29_63
.LBB29_135:
	v_mul_u64_e32 v[16:17], s[10:11], v[6:7]
	ds_load_b32 v1, v19 offset:4256
	v_lshl_add_u64 v[16:17], v[16:17], 2, v[14:15]
	s_wait_dscnt 0x0
	global_store_b32 v[16:17], v1, off
	s_wait_xcnt 0x0
	s_or_b32 exec_lo, exec_lo, s2
	s_and_saveexec_b32 s2, s5
	s_cbranch_execz .LBB29_64
.LBB29_136:
	v_mul_u64_e32 v[16:17], s[10:11], v[10:11]
	ds_load_b32 v1, v19 offset:4288
	v_lshl_add_u64 v[16:17], v[16:17], 2, v[14:15]
	s_wait_dscnt 0x0
	global_store_b32 v[16:17], v1, off
	s_wait_xcnt 0x0
	s_or_b32 exec_lo, exec_lo, s2
	s_and_saveexec_b32 s2, s6
	s_cbranch_execnz .LBB29_65
	s_branch .LBB29_66
.LBB29_137:
	v_mul_u64_e32 v[16:17], s[10:11], v[4:5]
	ds_load_b32 v1, v19
	v_lshl_add_u64 v[16:17], v[16:17], 2, v[14:15]
	s_wait_dscnt 0x0
	global_store_b32 v[16:17], v1, off
	s_wait_xcnt 0x0
	s_or_b32 exec_lo, exec_lo, s2
	s_and_saveexec_b32 s2, s1
	s_cbranch_execz .LBB29_78
.LBB29_138:
	v_mul_u64_e32 v[16:17], s[10:11], v[6:7]
	ds_load_b32 v1, v19 offset:32
	v_lshl_add_u64 v[16:17], v[16:17], 2, v[14:15]
	s_wait_dscnt 0x0
	global_store_b32 v[16:17], v1, off
	s_wait_xcnt 0x0
	s_or_b32 exec_lo, exec_lo, s2
	s_and_saveexec_b32 s2, s5
	s_cbranch_execz .LBB29_79
.LBB29_139:
	v_mul_u64_e32 v[16:17], s[10:11], v[10:11]
	ds_load_b32 v1, v19 offset:64
	v_lshl_add_u64 v[16:17], v[16:17], 2, v[14:15]
	s_wait_dscnt 0x0
	global_store_b32 v[16:17], v1, off
	s_wait_xcnt 0x0
	s_or_b32 exec_lo, exec_lo, s2
	s_and_saveexec_b32 s2, s6
	s_cbranch_execnz .LBB29_80
	s_branch .LBB29_81
.LBB29_140:
	v_mul_u64_e32 v[16:17], s[10:11], v[4:5]
	ds_load_b32 v1, v19 offset:4224
	v_lshl_add_u64 v[16:17], v[16:17], 2, v[14:15]
	s_wait_dscnt 0x0
	global_store_b32 v[16:17], v1, off
	s_wait_xcnt 0x0
	s_or_b32 exec_lo, exec_lo, s2
	s_and_saveexec_b32 s2, s1
	s_cbranch_execz .LBB29_93
.LBB29_141:
	v_mul_u64_e32 v[16:17], s[10:11], v[6:7]
	ds_load_b32 v1, v19 offset:4256
	v_lshl_add_u64 v[16:17], v[16:17], 2, v[14:15]
	s_wait_dscnt 0x0
	global_store_b32 v[16:17], v1, off
	s_wait_xcnt 0x0
	s_or_b32 exec_lo, exec_lo, s2
	s_and_saveexec_b32 s2, s5
	s_cbranch_execz .LBB29_94
.LBB29_142:
	v_mul_u64_e32 v[16:17], s[10:11], v[10:11]
	ds_load_b32 v1, v19 offset:4288
	v_lshl_add_u64 v[16:17], v[16:17], 2, v[14:15]
	s_wait_dscnt 0x0
	global_store_b32 v[16:17], v1, off
	s_wait_xcnt 0x0
	s_or_b32 exec_lo, exec_lo, s2
	s_and_saveexec_b32 s2, s6
	s_cbranch_execnz .LBB29_95
	s_branch .LBB29_96
.LBB29_143:
	v_mul_u64_e32 v[16:17], s[10:11], v[4:5]
	ds_load_b32 v1, v19
	v_lshl_add_u64 v[16:17], v[16:17], 2, v[14:15]
	s_wait_dscnt 0x0
	global_store_b32 v[16:17], v1, off
	s_wait_xcnt 0x0
	s_or_b32 exec_lo, exec_lo, s2
	s_and_saveexec_b32 s2, s1
	s_cbranch_execz .LBB29_108
.LBB29_144:
	v_mul_u64_e32 v[16:17], s[10:11], v[6:7]
	ds_load_b32 v1, v19 offset:32
	v_lshl_add_u64 v[16:17], v[16:17], 2, v[14:15]
	s_wait_dscnt 0x0
	global_store_b32 v[16:17], v1, off
	s_wait_xcnt 0x0
	s_or_b32 exec_lo, exec_lo, s2
	s_and_saveexec_b32 s2, s5
	s_cbranch_execz .LBB29_109
.LBB29_145:
	v_mul_u64_e32 v[16:17], s[10:11], v[10:11]
	ds_load_b32 v1, v19 offset:64
	v_lshl_add_u64 v[16:17], v[16:17], 2, v[14:15]
	s_wait_dscnt 0x0
	global_store_b32 v[16:17], v1, off
	s_wait_xcnt 0x0
	s_or_b32 exec_lo, exec_lo, s2
	s_and_saveexec_b32 s2, s6
	s_cbranch_execnz .LBB29_110
	s_branch .LBB29_111
.LBB29_146:
	v_mul_u64_e32 v[2:3], s[10:11], v[4:5]
	ds_load_b32 v4, v19 offset:4224
	v_lshl_add_u64 v[2:3], v[2:3], 2, v[0:1]
	s_wait_dscnt 0x0
	global_store_b32 v[2:3], v4, off
	s_wait_xcnt 0x0
	s_or_b32 exec_lo, exec_lo, s0
	s_and_saveexec_b32 s0, s1
	s_cbranch_execz .LBB29_123
.LBB29_147:
	v_mul_u64_e32 v[2:3], s[10:11], v[6:7]
	ds_load_b32 v4, v19 offset:4256
	v_lshl_add_u64 v[2:3], v[2:3], 2, v[0:1]
	s_wait_dscnt 0x0
	global_store_b32 v[2:3], v4, off
	s_wait_xcnt 0x0
	s_or_b32 exec_lo, exec_lo, s0
	s_and_saveexec_b32 s0, s5
	s_cbranch_execz .LBB29_124
.LBB29_148:
	v_mul_u64_e32 v[2:3], s[10:11], v[10:11]
	ds_load_b32 v4, v19 offset:4288
	v_lshl_add_u64 v[2:3], v[2:3], 2, v[0:1]
	s_wait_dscnt 0x0
	global_store_b32 v[2:3], v4, off
	s_wait_xcnt 0x0
	s_or_b32 exec_lo, exec_lo, s0
	s_and_saveexec_b32 s0, s6
	s_cbranch_execnz .LBB29_125
	s_branch .LBB29_126
	.section	.rodata,"a",@progbits
	.p2align	6, 0x0
	.amdhsa_kernel _ZL20cpy_scalar_transposeIiEvPKcPclllllllllllllll
		.amdhsa_group_segment_fixed_size 8448
		.amdhsa_private_segment_fixed_size 0
		.amdhsa_kernarg_size 136
		.amdhsa_user_sgpr_count 2
		.amdhsa_user_sgpr_dispatch_ptr 0
		.amdhsa_user_sgpr_queue_ptr 0
		.amdhsa_user_sgpr_kernarg_segment_ptr 1
		.amdhsa_user_sgpr_dispatch_id 0
		.amdhsa_user_sgpr_kernarg_preload_length 0
		.amdhsa_user_sgpr_kernarg_preload_offset 0
		.amdhsa_user_sgpr_private_segment_size 0
		.amdhsa_wavefront_size32 1
		.amdhsa_uses_dynamic_stack 0
		.amdhsa_enable_private_segment 0
		.amdhsa_system_sgpr_workgroup_id_x 1
		.amdhsa_system_sgpr_workgroup_id_y 1
		.amdhsa_system_sgpr_workgroup_id_z 1
		.amdhsa_system_sgpr_workgroup_info 0
		.amdhsa_system_vgpr_workitem_id 1
		.amdhsa_next_free_vgpr 20
		.amdhsa_next_free_sgpr 30
		.amdhsa_named_barrier_count 0
		.amdhsa_reserve_vcc 1
		.amdhsa_float_round_mode_32 0
		.amdhsa_float_round_mode_16_64 0
		.amdhsa_float_denorm_mode_32 3
		.amdhsa_float_denorm_mode_16_64 3
		.amdhsa_fp16_overflow 0
		.amdhsa_memory_ordered 1
		.amdhsa_forward_progress 1
		.amdhsa_inst_pref_size 47
		.amdhsa_round_robin_scheduling 0
		.amdhsa_exception_fp_ieee_invalid_op 0
		.amdhsa_exception_fp_denorm_src 0
		.amdhsa_exception_fp_ieee_div_zero 0
		.amdhsa_exception_fp_ieee_overflow 0
		.amdhsa_exception_fp_ieee_underflow 0
		.amdhsa_exception_fp_ieee_inexact 0
		.amdhsa_exception_int_div_zero 0
	.end_amdhsa_kernel
	.section	.text._ZL20cpy_scalar_transposeIiEvPKcPclllllllllllllll,"axG",@progbits,_ZL20cpy_scalar_transposeIiEvPKcPclllllllllllllll,comdat
.Lfunc_end29:
	.size	_ZL20cpy_scalar_transposeIiEvPKcPclllllllllllllll, .Lfunc_end29-_ZL20cpy_scalar_transposeIiEvPKcPclllllllllllllll
                                        ; -- End function
	.set _ZL20cpy_scalar_transposeIiEvPKcPclllllllllllllll.num_vgpr, 20
	.set _ZL20cpy_scalar_transposeIiEvPKcPclllllllllllllll.num_agpr, 0
	.set _ZL20cpy_scalar_transposeIiEvPKcPclllllllllllllll.numbered_sgpr, 30
	.set _ZL20cpy_scalar_transposeIiEvPKcPclllllllllllllll.num_named_barrier, 0
	.set _ZL20cpy_scalar_transposeIiEvPKcPclllllllllllllll.private_seg_size, 0
	.set _ZL20cpy_scalar_transposeIiEvPKcPclllllllllllllll.uses_vcc, 1
	.set _ZL20cpy_scalar_transposeIiEvPKcPclllllllllllllll.uses_flat_scratch, 0
	.set _ZL20cpy_scalar_transposeIiEvPKcPclllllllllllllll.has_dyn_sized_stack, 0
	.set _ZL20cpy_scalar_transposeIiEvPKcPclllllllllllllll.has_recursion, 0
	.set _ZL20cpy_scalar_transposeIiEvPKcPclllllllllllllll.has_indirect_call, 0
	.section	.AMDGPU.csdata,"",@progbits
; Kernel info:
; codeLenInByte = 5904
; TotalNumSgprs: 32
; NumVgprs: 20
; ScratchSize: 0
; MemoryBound: 0
; FloatMode: 240
; IeeeMode: 1
; LDSByteSize: 8448 bytes/workgroup (compile time only)
; SGPRBlocks: 0
; VGPRBlocks: 1
; NumSGPRsForWavesPerEU: 32
; NumVGPRsForWavesPerEU: 20
; NamedBarCnt: 0
; Occupancy: 16
; WaveLimiterHint : 0
; COMPUTE_PGM_RSRC2:SCRATCH_EN: 0
; COMPUTE_PGM_RSRC2:USER_SGPR: 2
; COMPUTE_PGM_RSRC2:TRAP_HANDLER: 0
; COMPUTE_PGM_RSRC2:TGID_X_EN: 1
; COMPUTE_PGM_RSRC2:TGID_Y_EN: 1
; COMPUTE_PGM_RSRC2:TGID_Z_EN: 1
; COMPUTE_PGM_RSRC2:TIDIG_COMP_CNT: 1
	.section	.text._ZL10cpy_scalarIXadL_ZL12cpy_1_scalarIiiEvPKcPcEEEvS2_S3_lllllllllllllll,"axG",@progbits,_ZL10cpy_scalarIXadL_ZL12cpy_1_scalarIiiEvPKcPcEEEvS2_S3_lllllllllllllll,comdat
	.globl	_ZL10cpy_scalarIXadL_ZL12cpy_1_scalarIiiEvPKcPcEEEvS2_S3_lllllllllllllll ; -- Begin function _ZL10cpy_scalarIXadL_ZL12cpy_1_scalarIiiEvPKcPcEEEvS2_S3_lllllllllllllll
	.p2align	8
	.type	_ZL10cpy_scalarIXadL_ZL12cpy_1_scalarIiiEvPKcPcEEEvS2_S3_lllllllllllllll,@function
_ZL10cpy_scalarIXadL_ZL12cpy_1_scalarIiiEvPKcPcEEEvS2_S3_lllllllllllllll: ; @_ZL10cpy_scalarIXadL_ZL12cpy_1_scalarIiiEvPKcPcEEEvS2_S3_lllllllllllllll
; %bb.0:
	s_load_b32 s2, s[0:1], 0x94
	s_bfe_u32 s4, ttmp6, 0x4000c
	v_mov_b32_e32 v2, 0
	s_add_co_i32 s21, s4, 1
	s_load_b512 s[4:19], s[0:1], 0x0
	s_and_b32 s3, ttmp6, 15
	s_mul_i32 s21, ttmp9, s21
	s_getreg_b32 s20, hwreg(HW_REG_IB_STS2, 6, 4)
	v_mov_b32_e32 v1, v2
	s_add_co_i32 s3, s3, s21
	s_wait_kmcnt 0x0
	s_and_b32 s2, s2, 0xffff
	s_cmp_eq_u32 s20, 0
	s_cselect_b32 s3, ttmp9, s3
	s_delay_alu instid0(SALU_CYCLE_1) | instskip(SKIP_1) | instid1(VALU_DEP_1)
	v_mad_nc_u64_u32 v[4:5], s2, s3, v[0:1]
	s_mov_b32 s2, exec_lo
	v_cmpx_gt_i64_e64 s[8:9], v[4:5]
	s_cbranch_execz .LBB30_26
; %bb.1:
	s_mul_u64 s[8:9], s[12:13], s[10:11]
                                        ; implicit-def: $vgpr0_vgpr1
	s_mov_b32 s2, exec_lo
	s_mul_u64 s[12:13], s[8:9], s[14:15]
	s_delay_alu instid0(SALU_CYCLE_1) | instskip(NEXT) | instid1(VALU_DEP_1)
	v_dual_ashrrev_i32 v8, 31, v5 :: v_dual_bitop2_b32 v3, s13, v5 bitop3:0x54
	v_cmpx_ne_u64_e32 0, v[2:3]
	s_xor_b32 s3, exec_lo, s2
	s_cbranch_execz .LBB30_3
; %bb.2:
	s_ashr_i32 s14, s13, 31
	s_mov_b32 s29, 0
	s_mov_b32 s15, s14
	v_dual_mov_b32 v9, v8 :: v_dual_mov_b32 v3, 0
	s_add_nc_u64 s[20:21], s[12:13], s[14:15]
	s_delay_alu instid0(SALU_CYCLE_1) | instskip(NEXT) | instid1(VALU_DEP_1)
	s_xor_b64 s[20:21], s[20:21], s[14:15]
	v_add_nc_u64_e32 v[0:1], v[4:5], v[8:9]
	s_cvt_f32_u32 s2, s20
	s_cvt_f32_u32 s15, s21
	s_sub_nc_u64 s[24:25], 0, s[20:21]
	v_dual_mov_b32 v7, v3 :: v_dual_mov_b32 v15, v3
	s_delay_alu instid0(SALU_CYCLE_1) | instskip(NEXT) | instid1(VALU_DEP_2)
	s_fmamk_f32 s2, s15, 0x4f800000, s2
	v_xor_b32_e32 v2, v0, v8
	v_xor_b32_e32 v6, v1, v8
	s_delay_alu instid0(SALU_CYCLE_1) | instskip(NEXT) | instid1(TRANS32_DEP_1)
	v_s_rcp_f32 s2, s2
	s_mul_f32 s2, s2, 0x5f7ffffc
	s_delay_alu instid0(SALU_CYCLE_3) | instskip(NEXT) | instid1(SALU_CYCLE_3)
	s_mul_f32 s15, s2, 0x2f800000
	s_trunc_f32 s15, s15
	s_delay_alu instid0(SALU_CYCLE_3) | instskip(SKIP_1) | instid1(SALU_CYCLE_2)
	s_fmamk_f32 s2, s15, 0xcf800000, s2
	s_cvt_u32_f32 s23, s15
	s_cvt_u32_f32 s22, s2
	s_delay_alu instid0(SALU_CYCLE_3) | instskip(NEXT) | instid1(SALU_CYCLE_1)
	s_mul_u64 s[26:27], s[24:25], s[22:23]
	s_mul_hi_u32 s31, s22, s27
	s_mul_i32 s30, s22, s27
	s_mul_hi_u32 s28, s22, s26
	s_mul_i32 s15, s23, s26
	s_add_nc_u64 s[30:31], s[28:29], s[30:31]
	s_mul_hi_u32 s2, s23, s26
	s_mul_hi_u32 s33, s23, s27
	s_add_co_u32 s15, s30, s15
	s_add_co_ci_u32 s28, s31, s2
	s_mul_i32 s26, s23, s27
	s_add_co_ci_u32 s27, s33, 0
	s_delay_alu instid0(SALU_CYCLE_1) | instskip(NEXT) | instid1(SALU_CYCLE_1)
	s_add_nc_u64 s[26:27], s[28:29], s[26:27]
	s_add_co_u32 s22, s22, s26
	s_cselect_b32 s2, -1, 0
	s_delay_alu instid0(SALU_CYCLE_1) | instskip(SKIP_1) | instid1(SALU_CYCLE_1)
	s_cmp_lg_u32 s2, 0
	s_add_co_ci_u32 s23, s23, s27
	s_mul_u64 s[24:25], s[24:25], s[22:23]
	s_delay_alu instid0(SALU_CYCLE_1)
	s_mul_hi_u32 s27, s22, s25
	s_mul_i32 s26, s22, s25
	s_mul_hi_u32 s28, s22, s24
	s_mul_i32 s15, s23, s24
	s_add_nc_u64 s[26:27], s[28:29], s[26:27]
	s_mul_hi_u32 s2, s23, s24
	s_mul_hi_u32 s30, s23, s25
	s_add_co_u32 s15, s26, s15
	s_add_co_ci_u32 s28, s27, s2
	s_mul_i32 s24, s23, s25
	s_add_co_ci_u32 s25, s30, 0
	s_delay_alu instid0(SALU_CYCLE_1) | instskip(NEXT) | instid1(SALU_CYCLE_1)
	s_add_nc_u64 s[24:25], s[28:29], s[24:25]
	s_add_co_u32 s2, s22, s24
	s_cselect_b32 s15, -1, 0
	v_nop
	v_mul_hi_u32 v14, v2, s2
	s_cmp_lg_u32 s15, 0
	s_add_co_ci_u32 s28, s23, s25
	s_mov_b64 s[22:23], 0xffffffff
	v_mul_u64_e32 v[10:11], s[28:29], v[2:3]
	s_and_b64 s[22:23], s[2:3], s[22:23]
	v_mul_u64_e32 v[12:13], s[28:29], v[6:7]
	v_mul_u64_e32 v[0:1], s[22:23], v[6:7]
	s_delay_alu instid0(VALU_DEP_3) | instskip(NEXT) | instid1(VALU_DEP_1)
	v_add_nc_u64_e32 v[10:11], v[14:15], v[10:11]
	v_add_co_u32 v0, vcc_lo, v10, v0
	s_delay_alu instid0(VALU_DEP_2) | instskip(SKIP_1) | instid1(VALU_DEP_1)
	v_add_co_ci_u32_e32 v14, vcc_lo, v11, v1, vcc_lo
	v_add_co_ci_u32_e32 v13, vcc_lo, 0, v13, vcc_lo
	v_add_nc_u64_e32 v[0:1], v[14:15], v[12:13]
	s_delay_alu instid0(VALU_DEP_1) | instskip(NEXT) | instid1(VALU_DEP_1)
	v_mul_u64_e32 v[10:11], s[20:21], v[0:1]
	v_sub_nc_u32_e32 v3, v6, v11
	s_delay_alu instid0(VALU_DEP_2) | instskip(NEXT) | instid1(VALU_DEP_1)
	v_sub_co_u32 v2, vcc_lo, v2, v10
	v_sub_co_ci_u32_e64 v9, null, v6, v11, vcc_lo
	s_delay_alu instid0(VALU_DEP_3) | instskip(NEXT) | instid1(VALU_DEP_3)
	v_subrev_co_ci_u32_e64 v3, null, s21, v3, vcc_lo
	v_sub_co_u32 v7, s2, v2, s20
	s_delay_alu instid0(VALU_DEP_1) | instskip(NEXT) | instid1(VALU_DEP_2)
	v_subrev_co_ci_u32_e64 v3, null, 0, v3, s2
	v_cmp_le_u32_e32 vcc_lo, s20, v7
	v_cndmask_b32_e64 v6, 0, -1, vcc_lo
	s_delay_alu instid0(VALU_DEP_3)
	v_cmp_le_u32_e32 vcc_lo, s21, v3
	v_cndmask_b32_e64 v7, 0, -1, vcc_lo
	v_cmp_le_u32_e32 vcc_lo, s20, v2
	v_cndmask_b32_e64 v10, 0, -1, vcc_lo
	;; [unrolled: 2-line block ×3, first 2 shown]
	v_cmp_eq_u32_e32 vcc_lo, s21, v3
	v_add_nc_u64_e32 v[2:3], 2, v[0:1]
	v_cndmask_b32_e32 v12, v7, v6, vcc_lo
	v_cmp_eq_u32_e32 vcc_lo, s21, v9
	v_add_nc_u64_e32 v[6:7], 1, v[0:1]
	v_cndmask_b32_e32 v9, v11, v10, vcc_lo
	s_delay_alu instid0(VALU_DEP_4) | instskip(NEXT) | instid1(VALU_DEP_3)
	v_cmp_ne_u32_e32 vcc_lo, 0, v12
	v_dual_cndmask_b32 v3, v7, v3 :: v_dual_cndmask_b32 v6, v6, v2
	v_xor_b32_e32 v2, s14, v8
	s_delay_alu instid0(VALU_DEP_4) | instskip(NEXT) | instid1(VALU_DEP_1)
	v_cmp_ne_u32_e64 s2, 0, v9
	v_dual_cndmask_b32 v1, v1, v3, s2 :: v_dual_cndmask_b32 v0, v0, v6, s2
	s_delay_alu instid0(VALU_DEP_1) | instskip(NEXT) | instid1(VALU_DEP_2)
	v_dual_mov_b32 v3, v2 :: v_dual_bitop2_b32 v1, v1, v2 bitop3:0x14
	v_xor_b32_e32 v0, v0, v2
	s_delay_alu instid0(VALU_DEP_1)
	v_sub_nc_u64_e32 v[0:1], v[0:1], v[2:3]
.LBB30_3:
	s_and_not1_saveexec_b32 s2, s3
	s_cbranch_execz .LBB30_5
; %bb.4:
	v_cvt_f32_u32_e32 v0, s12
	s_sub_co_i32 s3, 0, s12
	s_delay_alu instid0(VALU_DEP_1) | instskip(SKIP_1) | instid1(TRANS32_DEP_1)
	v_rcp_iflag_f32_e32 v0, v0
	v_nop
	v_mul_f32_e32 v0, 0x4f7ffffe, v0
	s_delay_alu instid0(VALU_DEP_1) | instskip(NEXT) | instid1(VALU_DEP_1)
	v_cvt_u32_f32_e32 v0, v0
	v_mul_lo_u32 v1, s3, v0
	s_delay_alu instid0(VALU_DEP_1) | instskip(NEXT) | instid1(VALU_DEP_1)
	v_mul_hi_u32 v1, v0, v1
	v_add_nc_u32_e32 v0, v0, v1
	s_delay_alu instid0(VALU_DEP_1) | instskip(NEXT) | instid1(VALU_DEP_1)
	v_mul_hi_u32 v0, v4, v0
	v_mul_lo_u32 v1, v0, s12
	s_delay_alu instid0(VALU_DEP_1) | instskip(NEXT) | instid1(VALU_DEP_1)
	v_dual_add_nc_u32 v2, 1, v0 :: v_dual_sub_nc_u32 v1, v4, v1
	v_subrev_nc_u32_e32 v3, s12, v1
	v_cmp_le_u32_e32 vcc_lo, s12, v1
	s_delay_alu instid0(VALU_DEP_2) | instskip(NEXT) | instid1(VALU_DEP_1)
	v_dual_cndmask_b32 v1, v1, v3 :: v_dual_cndmask_b32 v0, v0, v2
	v_cmp_le_u32_e32 vcc_lo, s12, v1
	s_delay_alu instid0(VALU_DEP_2) | instskip(NEXT) | instid1(VALU_DEP_1)
	v_dual_mov_b32 v1, 0 :: v_dual_add_nc_u32 v2, 1, v0
	v_cndmask_b32_e32 v0, v0, v2, vcc_lo
.LBB30_5:
	s_or_b32 exec_lo, exec_lo, s2
	s_delay_alu instid0(VALU_DEP_1) | instskip(SKIP_2) | instid1(VALU_DEP_2)
	v_mul_u64_e32 v[2:3], s[12:13], v[0:1]
	s_mov_b32 s2, exec_lo
	v_mov_b32_e32 v10, 0
	v_sub_nc_u64_e32 v[6:7], v[4:5], v[2:3]
                                        ; implicit-def: $vgpr2_vgpr3
	s_delay_alu instid0(VALU_DEP_1) | instskip(NEXT) | instid1(VALU_DEP_1)
	v_or_b32_e32 v11, s9, v7
	v_cmpx_ne_u64_e32 0, v[10:11]
	s_xor_b32 s3, exec_lo, s2
	s_cbranch_execz .LBB30_7
; %bb.6:
	s_ashr_i32 s12, s9, 31
	s_mov_b32 s27, 0
	s_mov_b32 s13, s12
	v_dual_mov_b32 v15, v10 :: v_dual_ashrrev_i32 v2, 31, v7
	s_add_nc_u64 s[14:15], s[8:9], s[12:13]
	v_dual_mov_b32 v23, v10 :: v_dual_mov_b32 v11, v10
	s_xor_b64 s[14:15], s[14:15], s[12:13]
	s_delay_alu instid0(VALU_DEP_2) | instskip(SKIP_3) | instid1(VALU_DEP_1)
	v_mov_b32_e32 v3, v2
	s_cvt_f32_u32 s2, s14
	s_cvt_f32_u32 s13, s15
	s_sub_nc_u64 s[22:23], 0, s[14:15]
	v_add_nc_u64_e32 v[12:13], v[6:7], v[2:3]
	s_delay_alu instid0(SALU_CYCLE_1) | instskip(SKIP_1) | instid1(SALU_CYCLE_2)
	s_fmamk_f32 s2, s13, 0x4f800000, s2
	v_mov_b32_e32 v17, v10
	v_s_rcp_f32 s2, s2
	s_delay_alu instid0(VALU_DEP_2) | instskip(NEXT) | instid1(VALU_DEP_3)
	v_xor_b32_e32 v14, v12, v2
	v_xor_b32_e32 v16, v13, v2
	;; [unrolled: 1-line block ×3, first 2 shown]
	s_delay_alu instid0(TRANS32_DEP_1) | instskip(NEXT) | instid1(SALU_CYCLE_3)
	s_mul_f32 s2, s2, 0x5f7ffffc
	s_mul_f32 s13, s2, 0x2f800000
	s_delay_alu instid0(SALU_CYCLE_3) | instskip(NEXT) | instid1(SALU_CYCLE_3)
	s_trunc_f32 s13, s13
	s_fmamk_f32 s2, s13, 0xcf800000, s2
	s_cvt_u32_f32 s21, s13
	s_delay_alu instid0(SALU_CYCLE_2) | instskip(NEXT) | instid1(SALU_CYCLE_3)
	s_cvt_u32_f32 s20, s2
	s_mul_u64 s[24:25], s[22:23], s[20:21]
	s_delay_alu instid0(SALU_CYCLE_1)
	s_mul_hi_u32 s29, s20, s25
	s_mul_i32 s28, s20, s25
	s_mul_hi_u32 s26, s20, s24
	s_mul_i32 s13, s21, s24
	s_add_nc_u64 s[28:29], s[26:27], s[28:29]
	s_mul_hi_u32 s2, s21, s24
	s_mul_hi_u32 s30, s21, s25
	s_add_co_u32 s13, s28, s13
	s_add_co_ci_u32 s26, s29, s2
	s_mul_i32 s24, s21, s25
	s_add_co_ci_u32 s25, s30, 0
	s_delay_alu instid0(SALU_CYCLE_1) | instskip(NEXT) | instid1(SALU_CYCLE_1)
	s_add_nc_u64 s[24:25], s[26:27], s[24:25]
	s_add_co_u32 s20, s20, s24
	s_cselect_b32 s2, -1, 0
	s_delay_alu instid0(SALU_CYCLE_1) | instskip(SKIP_1) | instid1(SALU_CYCLE_1)
	s_cmp_lg_u32 s2, 0
	s_add_co_ci_u32 s21, s21, s25
	s_mul_u64 s[22:23], s[22:23], s[20:21]
	s_delay_alu instid0(SALU_CYCLE_1)
	s_mul_hi_u32 s25, s20, s23
	s_mul_i32 s24, s20, s23
	s_mul_hi_u32 s26, s20, s22
	s_mul_i32 s13, s21, s22
	s_add_nc_u64 s[24:25], s[26:27], s[24:25]
	s_mul_hi_u32 s2, s21, s22
	s_mul_hi_u32 s28, s21, s23
	s_add_co_u32 s13, s24, s13
	s_add_co_ci_u32 s26, s25, s2
	s_mul_i32 s22, s21, s23
	s_add_co_ci_u32 s23, s28, 0
	s_delay_alu instid0(SALU_CYCLE_1) | instskip(NEXT) | instid1(SALU_CYCLE_1)
	s_add_nc_u64 s[22:23], s[26:27], s[22:23]
	s_add_co_u32 s2, s20, s22
	s_cselect_b32 s13, -1, 0
	v_mul_hi_u32 v22, v14, s2
	s_cmp_lg_u32 s13, 0
	s_add_co_ci_u32 s26, s21, s23
	s_mov_b64 s[20:21], 0xffffffff
	v_mul_u64_e32 v[18:19], s[26:27], v[14:15]
	s_and_b64 s[20:21], s[2:3], s[20:21]
	v_mul_u64_e32 v[20:21], s[26:27], v[16:17]
	v_mul_u64_e32 v[12:13], s[20:21], v[16:17]
	s_delay_alu instid0(VALU_DEP_3) | instskip(NEXT) | instid1(VALU_DEP_1)
	v_add_nc_u64_e32 v[18:19], v[22:23], v[18:19]
	v_add_co_u32 v3, vcc_lo, v18, v12
	s_delay_alu instid0(VALU_DEP_2) | instskip(SKIP_1) | instid1(VALU_DEP_1)
	v_add_co_ci_u32_e32 v10, vcc_lo, v19, v13, vcc_lo
	v_add_co_ci_u32_e32 v21, vcc_lo, 0, v21, vcc_lo
	v_add_nc_u64_e32 v[10:11], v[10:11], v[20:21]
	s_delay_alu instid0(VALU_DEP_1) | instskip(NEXT) | instid1(VALU_DEP_1)
	v_mul_u64_e32 v[12:13], s[14:15], v[10:11]
	v_sub_co_u32 v9, vcc_lo, v14, v12
	v_add_nc_u64_e32 v[14:15], 1, v[10:11]
	s_delay_alu instid0(VALU_DEP_3) | instskip(SKIP_1) | instid1(VALU_DEP_4)
	v_sub_nc_u32_e32 v3, v16, v13
	v_sub_co_ci_u32_e64 v16, null, v16, v13, vcc_lo
	v_sub_co_u32 v12, s2, v9, s14
	s_delay_alu instid0(VALU_DEP_3) | instskip(NEXT) | instid1(VALU_DEP_2)
	v_subrev_co_ci_u32_e64 v3, null, s15, v3, vcc_lo
	v_cmp_le_u32_e32 vcc_lo, s14, v12
	s_delay_alu instid0(VALU_DEP_2) | instskip(SKIP_1) | instid1(VALU_DEP_2)
	v_subrev_co_ci_u32_e64 v3, null, 0, v3, s2
	v_cndmask_b32_e64 v12, 0, -1, vcc_lo
	v_cmp_le_u32_e32 vcc_lo, s15, v3
	v_cndmask_b32_e64 v13, 0, -1, vcc_lo
	v_cmp_le_u32_e32 vcc_lo, s14, v9
	;; [unrolled: 2-line block ×3, first 2 shown]
	v_cndmask_b32_e64 v17, 0, -1, vcc_lo
	v_cmp_eq_u32_e32 vcc_lo, s15, v3
	v_cndmask_b32_e32 v3, v13, v12, vcc_lo
	v_cmp_eq_u32_e32 vcc_lo, s15, v16
	v_add_nc_u64_e32 v[12:13], 2, v[10:11]
	v_cndmask_b32_e32 v9, v17, v9, vcc_lo
	s_delay_alu instid0(VALU_DEP_4) | instskip(NEXT) | instid1(VALU_DEP_2)
	v_cmp_ne_u32_e32 vcc_lo, 0, v3
	v_cmp_ne_u32_e64 s2, 0, v9
	s_delay_alu instid0(VALU_DEP_4) | instskip(NEXT) | instid1(VALU_DEP_1)
	v_cndmask_b32_e32 v9, v14, v12, vcc_lo
	v_cndmask_b32_e64 v9, v10, v9, s2
	s_delay_alu instid0(VALU_DEP_1) | instskip(NEXT) | instid1(VALU_DEP_1)
	v_dual_cndmask_b32 v3, v15, v13, vcc_lo :: v_dual_bitop2_b32 v10, v9, v2 bitop3:0x14
	v_dual_cndmask_b32 v11, v11, v3, s2 :: v_dual_mov_b32 v3, v2
	s_delay_alu instid0(VALU_DEP_1) | instskip(NEXT) | instid1(VALU_DEP_1)
	v_xor_b32_e32 v11, v11, v2
	v_sub_nc_u64_e32 v[2:3], v[10:11], v[2:3]
.LBB30_7:
	s_and_not1_saveexec_b32 s2, s3
	s_cbranch_execz .LBB30_9
; %bb.8:
	v_cvt_f32_u32_e32 v2, s8
	s_sub_co_i32 s3, 0, s8
	s_delay_alu instid0(VALU_DEP_1) | instskip(SKIP_1) | instid1(TRANS32_DEP_1)
	v_rcp_iflag_f32_e32 v2, v2
	v_nop
	v_mul_f32_e32 v2, 0x4f7ffffe, v2
	s_delay_alu instid0(VALU_DEP_1) | instskip(NEXT) | instid1(VALU_DEP_1)
	v_cvt_u32_f32_e32 v2, v2
	v_mul_lo_u32 v3, s3, v2
	s_delay_alu instid0(VALU_DEP_1) | instskip(NEXT) | instid1(VALU_DEP_1)
	v_mul_hi_u32 v3, v2, v3
	v_add_nc_u32_e32 v2, v2, v3
	s_delay_alu instid0(VALU_DEP_1) | instskip(NEXT) | instid1(VALU_DEP_1)
	v_mul_hi_u32 v2, v6, v2
	v_mul_lo_u32 v3, v2, s8
	s_delay_alu instid0(VALU_DEP_1) | instskip(NEXT) | instid1(VALU_DEP_1)
	v_dual_add_nc_u32 v9, 1, v2 :: v_dual_sub_nc_u32 v3, v6, v3
	v_subrev_nc_u32_e32 v10, s8, v3
	v_cmp_le_u32_e32 vcc_lo, s8, v3
	s_delay_alu instid0(VALU_DEP_2) | instskip(NEXT) | instid1(VALU_DEP_1)
	v_dual_cndmask_b32 v3, v3, v10 :: v_dual_cndmask_b32 v2, v2, v9
	v_cmp_le_u32_e32 vcc_lo, s8, v3
	s_delay_alu instid0(VALU_DEP_2) | instskip(NEXT) | instid1(VALU_DEP_1)
	v_dual_add_nc_u32 v9, 1, v2 :: v_dual_mov_b32 v3, 0
	v_cndmask_b32_e32 v2, v2, v9, vcc_lo
.LBB30_9:
	s_or_b32 exec_lo, exec_lo, s2
	s_delay_alu instid0(VALU_DEP_1) | instskip(SKIP_2) | instid1(VALU_DEP_2)
	v_mul_u64_e32 v[10:11], s[8:9], v[2:3]
	s_mov_b32 s2, exec_lo
	v_mov_b32_e32 v12, 0
	v_sub_nc_u64_e32 v[6:7], v[6:7], v[10:11]
                                        ; implicit-def: $vgpr10_vgpr11
	s_delay_alu instid0(VALU_DEP_1) | instskip(NEXT) | instid1(VALU_DEP_1)
	v_or_b32_e32 v13, s11, v7
	v_cmpx_ne_u64_e32 0, v[12:13]
	s_xor_b32 s3, exec_lo, s2
	s_cbranch_execz .LBB30_11
; %bb.10:
	s_ashr_i32 s8, s11, 31
	s_mov_b32 s25, 0
	s_mov_b32 s9, s8
	v_dual_mov_b32 v17, v12 :: v_dual_ashrrev_i32 v10, 31, v7
	s_add_nc_u64 s[12:13], s[10:11], s[8:9]
	v_mov_b32_e32 v19, v12
	s_xor_b64 s[12:13], s[12:13], s[8:9]
	s_delay_alu instid0(VALU_DEP_2)
	v_mov_b32_e32 v11, v10
	s_cvt_f32_u32 s2, s12
	s_cvt_f32_u32 s9, s13
	s_sub_nc_u64 s[20:21], 0, s[12:13]
	v_mov_b32_e32 v25, v12
	v_add_nc_u64_e32 v[14:15], v[6:7], v[10:11]
	s_fmamk_f32 s2, s9, 0x4f800000, s2
	v_mov_b32_e32 v13, v12
	s_delay_alu instid0(SALU_CYCLE_2) | instskip(NEXT) | instid1(VALU_DEP_2)
	v_s_rcp_f32 s2, s2
	v_xor_b32_e32 v16, v14, v10
	s_delay_alu instid0(VALU_DEP_3) | instskip(SKIP_1) | instid1(TRANS32_DEP_1)
	v_xor_b32_e32 v18, v15, v10
	v_xor_b32_e32 v10, s8, v10
	s_mul_f32 s2, s2, 0x5f7ffffc
	s_delay_alu instid0(SALU_CYCLE_3) | instskip(NEXT) | instid1(SALU_CYCLE_3)
	s_mul_f32 s9, s2, 0x2f800000
	s_trunc_f32 s9, s9
	s_delay_alu instid0(SALU_CYCLE_3) | instskip(SKIP_1) | instid1(SALU_CYCLE_2)
	s_fmamk_f32 s2, s9, 0xcf800000, s2
	s_cvt_u32_f32 s15, s9
	s_cvt_u32_f32 s14, s2
	s_delay_alu instid0(SALU_CYCLE_3) | instskip(NEXT) | instid1(SALU_CYCLE_1)
	s_mul_u64 s[22:23], s[20:21], s[14:15]
	s_mul_hi_u32 s27, s14, s23
	s_mul_i32 s26, s14, s23
	s_mul_hi_u32 s24, s14, s22
	s_mul_i32 s9, s15, s22
	s_add_nc_u64 s[26:27], s[24:25], s[26:27]
	s_mul_hi_u32 s2, s15, s22
	s_mul_hi_u32 s28, s15, s23
	s_add_co_u32 s9, s26, s9
	s_add_co_ci_u32 s24, s27, s2
	s_mul_i32 s22, s15, s23
	s_add_co_ci_u32 s23, s28, 0
	s_delay_alu instid0(SALU_CYCLE_1) | instskip(NEXT) | instid1(SALU_CYCLE_1)
	s_add_nc_u64 s[22:23], s[24:25], s[22:23]
	s_add_co_u32 s14, s14, s22
	s_cselect_b32 s2, -1, 0
	s_delay_alu instid0(SALU_CYCLE_1) | instskip(SKIP_1) | instid1(SALU_CYCLE_1)
	s_cmp_lg_u32 s2, 0
	s_add_co_ci_u32 s15, s15, s23
	s_mul_u64 s[20:21], s[20:21], s[14:15]
	s_delay_alu instid0(SALU_CYCLE_1)
	s_mul_hi_u32 s23, s14, s21
	s_mul_i32 s22, s14, s21
	s_mul_hi_u32 s24, s14, s20
	s_mul_i32 s9, s15, s20
	s_add_nc_u64 s[22:23], s[24:25], s[22:23]
	s_mul_hi_u32 s2, s15, s20
	s_mul_hi_u32 s26, s15, s21
	s_add_co_u32 s9, s22, s9
	s_add_co_ci_u32 s24, s23, s2
	s_mul_i32 s20, s15, s21
	s_add_co_ci_u32 s21, s26, 0
	s_delay_alu instid0(SALU_CYCLE_1) | instskip(NEXT) | instid1(SALU_CYCLE_1)
	s_add_nc_u64 s[20:21], s[24:25], s[20:21]
	s_add_co_u32 s2, s14, s20
	s_cselect_b32 s9, -1, 0
	v_mul_hi_u32 v24, v16, s2
	s_cmp_lg_u32 s9, 0
	s_add_co_ci_u32 s24, s15, s21
	s_mov_b64 s[14:15], 0xffffffff
	v_mul_u64_e32 v[20:21], s[24:25], v[16:17]
	s_and_b64 s[14:15], s[2:3], s[14:15]
	v_mul_u64_e32 v[22:23], s[24:25], v[18:19]
	v_mul_u64_e32 v[14:15], s[14:15], v[18:19]
	s_delay_alu instid0(VALU_DEP_3) | instskip(NEXT) | instid1(VALU_DEP_1)
	v_add_nc_u64_e32 v[20:21], v[24:25], v[20:21]
	v_add_co_u32 v9, vcc_lo, v20, v14
	s_delay_alu instid0(VALU_DEP_2) | instskip(SKIP_1) | instid1(VALU_DEP_1)
	v_add_co_ci_u32_e32 v12, vcc_lo, v21, v15, vcc_lo
	v_add_co_ci_u32_e32 v23, vcc_lo, 0, v23, vcc_lo
	v_add_nc_u64_e32 v[12:13], v[12:13], v[22:23]
	s_delay_alu instid0(VALU_DEP_1) | instskip(NEXT) | instid1(VALU_DEP_1)
	v_mul_u64_e32 v[14:15], s[12:13], v[12:13]
	v_sub_co_u32 v11, vcc_lo, v16, v14
	v_add_nc_u64_e32 v[16:17], 1, v[12:13]
	s_delay_alu instid0(VALU_DEP_3) | instskip(SKIP_1) | instid1(VALU_DEP_4)
	v_sub_nc_u32_e32 v9, v18, v15
	v_sub_co_ci_u32_e64 v18, null, v18, v15, vcc_lo
	v_sub_co_u32 v14, s2, v11, s12
	s_delay_alu instid0(VALU_DEP_3) | instskip(NEXT) | instid1(VALU_DEP_2)
	v_subrev_co_ci_u32_e64 v9, null, s13, v9, vcc_lo
	v_cmp_le_u32_e32 vcc_lo, s12, v14
	s_delay_alu instid0(VALU_DEP_2) | instskip(SKIP_1) | instid1(VALU_DEP_2)
	v_subrev_co_ci_u32_e64 v9, null, 0, v9, s2
	v_cndmask_b32_e64 v14, 0, -1, vcc_lo
	v_cmp_le_u32_e32 vcc_lo, s13, v9
	v_cndmask_b32_e64 v15, 0, -1, vcc_lo
	v_cmp_le_u32_e32 vcc_lo, s12, v11
	;; [unrolled: 2-line block ×3, first 2 shown]
	v_cndmask_b32_e64 v19, 0, -1, vcc_lo
	v_cmp_eq_u32_e32 vcc_lo, s13, v9
	v_cndmask_b32_e32 v9, v15, v14, vcc_lo
	v_cmp_eq_u32_e32 vcc_lo, s13, v18
	v_add_nc_u64_e32 v[14:15], 2, v[12:13]
	v_cndmask_b32_e32 v11, v19, v11, vcc_lo
	s_delay_alu instid0(VALU_DEP_4) | instskip(NEXT) | instid1(VALU_DEP_2)
	v_cmp_ne_u32_e32 vcc_lo, 0, v9
	v_cmp_ne_u32_e64 s2, 0, v11
	s_delay_alu instid0(VALU_DEP_4) | instskip(NEXT) | instid1(VALU_DEP_1)
	v_dual_cndmask_b32 v9, v17, v15, vcc_lo :: v_dual_cndmask_b32 v11, v16, v14, vcc_lo
	v_dual_cndmask_b32 v12, v12, v11, s2 :: v_dual_mov_b32 v11, v10
	s_delay_alu instid0(VALU_DEP_1) | instskip(NEXT) | instid1(VALU_DEP_1)
	v_dual_cndmask_b32 v9, v13, v9, s2 :: v_dual_bitop2_b32 v12, v12, v10 bitop3:0x14
	v_xor_b32_e32 v13, v9, v10
	s_delay_alu instid0(VALU_DEP_1)
	v_sub_nc_u64_e32 v[10:11], v[12:13], v[10:11]
.LBB30_11:
	s_and_not1_saveexec_b32 s2, s3
	s_cbranch_execz .LBB30_13
; %bb.12:
	v_cvt_f32_u32_e32 v9, s10
	s_sub_co_i32 s3, 0, s10
	s_delay_alu instid0(VALU_DEP_1) | instskip(SKIP_1) | instid1(TRANS32_DEP_1)
	v_rcp_iflag_f32_e32 v9, v9
	v_nop
	v_mul_f32_e32 v9, 0x4f7ffffe, v9
	s_delay_alu instid0(VALU_DEP_1) | instskip(NEXT) | instid1(VALU_DEP_1)
	v_cvt_u32_f32_e32 v9, v9
	v_mul_lo_u32 v10, s3, v9
	s_delay_alu instid0(VALU_DEP_1) | instskip(NEXT) | instid1(VALU_DEP_1)
	v_mul_hi_u32 v10, v9, v10
	v_add_nc_u32_e32 v9, v9, v10
	s_delay_alu instid0(VALU_DEP_1) | instskip(NEXT) | instid1(VALU_DEP_1)
	v_mul_hi_u32 v9, v6, v9
	v_mul_lo_u32 v10, v9, s10
	s_delay_alu instid0(VALU_DEP_1) | instskip(NEXT) | instid1(VALU_DEP_1)
	v_dual_add_nc_u32 v11, 1, v9 :: v_dual_sub_nc_u32 v10, v6, v10
	v_subrev_nc_u32_e32 v12, s10, v10
	v_cmp_le_u32_e32 vcc_lo, s10, v10
	s_delay_alu instid0(VALU_DEP_2) | instskip(NEXT) | instid1(VALU_DEP_1)
	v_dual_cndmask_b32 v10, v10, v12 :: v_dual_cndmask_b32 v9, v9, v11
	v_cmp_le_u32_e32 vcc_lo, s10, v10
	s_delay_alu instid0(VALU_DEP_2) | instskip(NEXT) | instid1(VALU_DEP_1)
	v_add_nc_u32_e32 v11, 1, v9
	v_dual_cndmask_b32 v10, v9, v11 :: v_dual_mov_b32 v11, 0
.LBB30_13:
	s_or_b32 exec_lo, exec_lo, s2
	s_load_b512 s[36:51], s[0:1], 0x40
                                        ; implicit-def: $vgpr12_vgpr13
	s_mov_b32 s2, exec_lo
	v_mov_b32_e32 v14, 0
	s_wait_kmcnt 0x0
	s_mul_u64 s[8:9], s[42:43], s[40:41]
	s_delay_alu instid0(SALU_CYCLE_1) | instskip(NEXT) | instid1(SALU_CYCLE_1)
	s_mul_u64 s[12:13], s[8:9], s[44:45]
	v_or_b32_e32 v15, s13, v5
	s_delay_alu instid0(VALU_DEP_1)
	v_cmpx_ne_u64_e32 0, v[14:15]
	s_xor_b32 s3, exec_lo, s2
	s_cbranch_execz .LBB30_15
; %bb.14:
	s_ashr_i32 s14, s13, 31
	s_mov_b32 s29, 0
	s_mov_b32 s15, s14
	v_dual_mov_b32 v9, v8 :: v_dual_mov_b32 v17, v14
	s_add_nc_u64 s[20:21], s[12:13], s[14:15]
	v_mov_b32_e32 v15, v14
	s_xor_b64 s[20:21], s[20:21], s[14:15]
	s_delay_alu instid0(VALU_DEP_2) | instskip(SKIP_4) | instid1(SALU_CYCLE_1)
	v_add_nc_u64_e32 v[12:13], v[4:5], v[8:9]
	s_cvt_f32_u32 s2, s20
	s_cvt_f32_u32 s15, s21
	s_sub_nc_u64 s[24:25], 0, s[20:21]
	v_dual_mov_b32 v19, v14 :: v_dual_mov_b32 v25, v14
	s_fmamk_f32 s2, s15, 0x4f800000, s2
	s_delay_alu instid0(VALU_DEP_2) | instskip(SKIP_3) | instid1(TRANS32_DEP_1)
	v_xor_b32_e32 v16, v12, v8
	v_xor_b32_e32 v18, v13, v8
	;; [unrolled: 1-line block ×3, first 2 shown]
	v_s_rcp_f32 s2, s2
	s_mul_f32 s2, s2, 0x5f7ffffc
	s_delay_alu instid0(SALU_CYCLE_3) | instskip(NEXT) | instid1(SALU_CYCLE_3)
	s_mul_f32 s15, s2, 0x2f800000
	s_trunc_f32 s15, s15
	s_delay_alu instid0(SALU_CYCLE_3) | instskip(SKIP_1) | instid1(SALU_CYCLE_2)
	s_fmamk_f32 s2, s15, 0xcf800000, s2
	s_cvt_u32_f32 s23, s15
	s_cvt_u32_f32 s22, s2
	s_delay_alu instid0(SALU_CYCLE_3) | instskip(NEXT) | instid1(SALU_CYCLE_1)
	s_mul_u64 s[26:27], s[24:25], s[22:23]
	s_mul_hi_u32 s31, s22, s27
	s_mul_i32 s30, s22, s27
	s_mul_hi_u32 s28, s22, s26
	s_mul_i32 s15, s23, s26
	s_add_nc_u64 s[30:31], s[28:29], s[30:31]
	s_mul_hi_u32 s2, s23, s26
	s_mul_hi_u32 s33, s23, s27
	s_add_co_u32 s15, s30, s15
	s_add_co_ci_u32 s28, s31, s2
	s_mul_i32 s26, s23, s27
	s_add_co_ci_u32 s27, s33, 0
	s_delay_alu instid0(SALU_CYCLE_1) | instskip(NEXT) | instid1(SALU_CYCLE_1)
	s_add_nc_u64 s[26:27], s[28:29], s[26:27]
	s_add_co_u32 s22, s22, s26
	s_cselect_b32 s2, -1, 0
	s_delay_alu instid0(SALU_CYCLE_1) | instskip(SKIP_1) | instid1(SALU_CYCLE_1)
	s_cmp_lg_u32 s2, 0
	s_add_co_ci_u32 s23, s23, s27
	s_mul_u64 s[24:25], s[24:25], s[22:23]
	s_delay_alu instid0(SALU_CYCLE_1)
	s_mul_hi_u32 s27, s22, s25
	s_mul_i32 s26, s22, s25
	s_mul_hi_u32 s28, s22, s24
	s_mul_i32 s15, s23, s24
	s_add_nc_u64 s[26:27], s[28:29], s[26:27]
	s_mul_hi_u32 s2, s23, s24
	s_mul_hi_u32 s30, s23, s25
	s_add_co_u32 s15, s26, s15
	s_add_co_ci_u32 s28, s27, s2
	s_mul_i32 s24, s23, s25
	s_add_co_ci_u32 s25, s30, 0
	s_delay_alu instid0(SALU_CYCLE_1) | instskip(NEXT) | instid1(SALU_CYCLE_1)
	s_add_nc_u64 s[24:25], s[28:29], s[24:25]
	s_add_co_u32 s2, s22, s24
	s_cselect_b32 s15, -1, 0
	v_nop
	v_mul_hi_u32 v24, v16, s2
	s_cmp_lg_u32 s15, 0
	s_add_co_ci_u32 s28, s23, s25
	s_mov_b64 s[22:23], 0xffffffff
	v_mul_u64_e32 v[20:21], s[28:29], v[16:17]
	s_and_b64 s[22:23], s[2:3], s[22:23]
	v_mul_u64_e32 v[22:23], s[28:29], v[18:19]
	v_mul_u64_e32 v[12:13], s[22:23], v[18:19]
	s_delay_alu instid0(VALU_DEP_3) | instskip(NEXT) | instid1(VALU_DEP_1)
	v_add_nc_u64_e32 v[20:21], v[24:25], v[20:21]
	v_add_co_u32 v9, vcc_lo, v20, v12
	s_delay_alu instid0(VALU_DEP_2) | instskip(SKIP_1) | instid1(VALU_DEP_1)
	v_add_co_ci_u32_e32 v14, vcc_lo, v21, v13, vcc_lo
	v_add_co_ci_u32_e32 v23, vcc_lo, 0, v23, vcc_lo
	v_add_nc_u64_e32 v[12:13], v[14:15], v[22:23]
	s_delay_alu instid0(VALU_DEP_1) | instskip(NEXT) | instid1(VALU_DEP_1)
	v_mul_u64_e32 v[14:15], s[20:21], v[12:13]
	v_sub_nc_u32_e32 v9, v18, v15
	s_delay_alu instid0(VALU_DEP_2) | instskip(NEXT) | instid1(VALU_DEP_1)
	v_sub_co_u32 v14, vcc_lo, v16, v14
	v_sub_co_ci_u32_e64 v18, null, v18, v15, vcc_lo
	s_delay_alu instid0(VALU_DEP_3) | instskip(NEXT) | instid1(VALU_DEP_3)
	v_subrev_co_ci_u32_e64 v9, null, s21, v9, vcc_lo
	v_sub_co_u32 v16, s2, v14, s20
	s_delay_alu instid0(VALU_DEP_1) | instskip(NEXT) | instid1(VALU_DEP_2)
	v_subrev_co_ci_u32_e64 v9, null, 0, v9, s2
	v_cmp_le_u32_e32 vcc_lo, s20, v16
	v_cndmask_b32_e64 v15, 0, -1, vcc_lo
	s_delay_alu instid0(VALU_DEP_3)
	v_cmp_le_u32_e32 vcc_lo, s21, v9
	v_cndmask_b32_e64 v16, 0, -1, vcc_lo
	v_cmp_le_u32_e32 vcc_lo, s20, v14
	v_cndmask_b32_e64 v19, 0, -1, vcc_lo
	v_cmp_le_u32_e32 vcc_lo, s21, v18
	v_cndmask_b32_e64 v20, 0, -1, vcc_lo
	v_cmp_eq_u32_e32 vcc_lo, s21, v9
	v_cndmask_b32_e32 v9, v16, v15, vcc_lo
	v_cmp_eq_u32_e32 vcc_lo, s21, v18
	v_add_nc_u64_e32 v[14:15], 2, v[12:13]
	v_add_nc_u64_e32 v[16:17], 1, v[12:13]
	v_cndmask_b32_e32 v18, v20, v19, vcc_lo
	v_cmp_ne_u32_e32 vcc_lo, 0, v9
	s_delay_alu instid0(VALU_DEP_2) | instskip(NEXT) | instid1(VALU_DEP_4)
	v_cmp_ne_u32_e64 s2, 0, v18
	v_dual_cndmask_b32 v14, v16, v14 :: v_dual_cndmask_b32 v9, v17, v15
	s_delay_alu instid0(VALU_DEP_1) | instskip(SKIP_1) | instid1(VALU_DEP_2)
	v_dual_cndmask_b32 v12, v12, v14, s2 :: v_dual_cndmask_b32 v13, v13, v9, s2
	v_mov_b32_e32 v9, v8
	v_xor_b32_e32 v12, v12, v8
	s_delay_alu instid0(VALU_DEP_3) | instskip(NEXT) | instid1(VALU_DEP_1)
	v_xor_b32_e32 v13, v13, v8
	v_sub_nc_u64_e32 v[12:13], v[12:13], v[8:9]
.LBB30_15:
	s_and_not1_saveexec_b32 s2, s3
	s_cbranch_execz .LBB30_17
; %bb.16:
	v_cvt_f32_u32_e32 v8, s12
	s_sub_co_i32 s3, 0, s12
	s_delay_alu instid0(VALU_DEP_1) | instskip(SKIP_1) | instid1(TRANS32_DEP_1)
	v_rcp_iflag_f32_e32 v8, v8
	v_nop
	v_mul_f32_e32 v8, 0x4f7ffffe, v8
	s_delay_alu instid0(VALU_DEP_1) | instskip(NEXT) | instid1(VALU_DEP_1)
	v_cvt_u32_f32_e32 v8, v8
	v_mul_lo_u32 v9, s3, v8
	s_delay_alu instid0(VALU_DEP_1) | instskip(NEXT) | instid1(VALU_DEP_1)
	v_mul_hi_u32 v9, v8, v9
	v_add_nc_u32_e32 v8, v8, v9
	s_delay_alu instid0(VALU_DEP_1) | instskip(NEXT) | instid1(VALU_DEP_1)
	v_mul_hi_u32 v8, v4, v8
	v_mul_lo_u32 v9, v8, s12
	s_delay_alu instid0(VALU_DEP_1) | instskip(NEXT) | instid1(VALU_DEP_1)
	v_sub_nc_u32_e32 v9, v4, v9
	v_subrev_nc_u32_e32 v13, s12, v9
	v_cmp_le_u32_e32 vcc_lo, s12, v9
	s_delay_alu instid0(VALU_DEP_2) | instskip(NEXT) | instid1(VALU_DEP_1)
	v_dual_cndmask_b32 v9, v9, v13 :: v_dual_add_nc_u32 v12, 1, v8
	v_dual_cndmask_b32 v8, v8, v12 :: v_dual_mov_b32 v13, 0
	s_delay_alu instid0(VALU_DEP_2) | instskip(NEXT) | instid1(VALU_DEP_2)
	v_cmp_le_u32_e32 vcc_lo, s12, v9
	v_add_nc_u32_e32 v12, 1, v8
	s_delay_alu instid0(VALU_DEP_1)
	v_cndmask_b32_e32 v12, v8, v12, vcc_lo
.LBB30_17:
	s_or_b32 exec_lo, exec_lo, s2
	s_delay_alu instid0(VALU_DEP_1) | instskip(SKIP_2) | instid1(VALU_DEP_2)
	v_mul_u64_e32 v[8:9], s[12:13], v[12:13]
	s_mov_b32 s2, exec_lo
	v_mov_b32_e32 v14, 0
	v_sub_nc_u64_e32 v[8:9], v[4:5], v[8:9]
                                        ; implicit-def: $vgpr4_vgpr5
	s_delay_alu instid0(VALU_DEP_1) | instskip(NEXT) | instid1(VALU_DEP_1)
	v_or_b32_e32 v15, s9, v9
	v_cmpx_ne_u64_e32 0, v[14:15]
	s_xor_b32 s3, exec_lo, s2
	s_cbranch_execz .LBB30_19
; %bb.18:
	s_ashr_i32 s12, s9, 31
	s_mov_b32 s27, 0
	s_mov_b32 s13, s12
	v_dual_mov_b32 v19, v14 :: v_dual_ashrrev_i32 v4, 31, v9
	s_add_nc_u64 s[14:15], s[8:9], s[12:13]
	v_mov_b32_e32 v21, v14
	s_xor_b64 s[14:15], s[14:15], s[12:13]
	s_delay_alu instid0(VALU_DEP_2)
	v_mov_b32_e32 v5, v4
	s_cvt_f32_u32 s2, s14
	s_cvt_f32_u32 s13, s15
	s_sub_nc_u64 s[22:23], 0, s[14:15]
	v_mov_b32_e32 v27, v14
	v_add_nc_u64_e32 v[16:17], v[8:9], v[4:5]
	s_fmamk_f32 s2, s13, 0x4f800000, s2
	v_mov_b32_e32 v15, v14
	s_delay_alu instid0(SALU_CYCLE_2) | instskip(NEXT) | instid1(VALU_DEP_2)
	v_s_rcp_f32 s2, s2
	v_xor_b32_e32 v18, v16, v4
	s_delay_alu instid0(VALU_DEP_3) | instskip(SKIP_1) | instid1(TRANS32_DEP_1)
	v_xor_b32_e32 v20, v17, v4
	v_xor_b32_e32 v4, s12, v4
	s_mul_f32 s2, s2, 0x5f7ffffc
	s_delay_alu instid0(SALU_CYCLE_3) | instskip(NEXT) | instid1(SALU_CYCLE_3)
	s_mul_f32 s13, s2, 0x2f800000
	s_trunc_f32 s13, s13
	s_delay_alu instid0(SALU_CYCLE_3) | instskip(SKIP_1) | instid1(SALU_CYCLE_2)
	s_fmamk_f32 s2, s13, 0xcf800000, s2
	s_cvt_u32_f32 s21, s13
	s_cvt_u32_f32 s20, s2
	s_delay_alu instid0(SALU_CYCLE_3) | instskip(NEXT) | instid1(SALU_CYCLE_1)
	s_mul_u64 s[24:25], s[22:23], s[20:21]
	s_mul_hi_u32 s29, s20, s25
	s_mul_i32 s28, s20, s25
	s_mul_hi_u32 s26, s20, s24
	s_mul_i32 s13, s21, s24
	s_add_nc_u64 s[28:29], s[26:27], s[28:29]
	s_mul_hi_u32 s2, s21, s24
	s_mul_hi_u32 s30, s21, s25
	s_add_co_u32 s13, s28, s13
	s_add_co_ci_u32 s26, s29, s2
	s_mul_i32 s24, s21, s25
	s_add_co_ci_u32 s25, s30, 0
	s_delay_alu instid0(SALU_CYCLE_1) | instskip(NEXT) | instid1(SALU_CYCLE_1)
	s_add_nc_u64 s[24:25], s[26:27], s[24:25]
	s_add_co_u32 s20, s20, s24
	s_cselect_b32 s2, -1, 0
	s_delay_alu instid0(SALU_CYCLE_1) | instskip(SKIP_1) | instid1(SALU_CYCLE_1)
	s_cmp_lg_u32 s2, 0
	s_add_co_ci_u32 s21, s21, s25
	s_mul_u64 s[22:23], s[22:23], s[20:21]
	s_delay_alu instid0(SALU_CYCLE_1)
	s_mul_hi_u32 s25, s20, s23
	s_mul_i32 s24, s20, s23
	s_mul_hi_u32 s26, s20, s22
	s_mul_i32 s13, s21, s22
	s_add_nc_u64 s[24:25], s[26:27], s[24:25]
	s_mul_hi_u32 s2, s21, s22
	s_mul_hi_u32 s28, s21, s23
	s_add_co_u32 s13, s24, s13
	s_add_co_ci_u32 s26, s25, s2
	s_mul_i32 s22, s21, s23
	s_add_co_ci_u32 s23, s28, 0
	s_delay_alu instid0(SALU_CYCLE_1) | instskip(NEXT) | instid1(SALU_CYCLE_1)
	s_add_nc_u64 s[22:23], s[26:27], s[22:23]
	s_add_co_u32 s2, s20, s22
	s_cselect_b32 s13, -1, 0
	v_mul_hi_u32 v26, v18, s2
	s_cmp_lg_u32 s13, 0
	s_add_co_ci_u32 s26, s21, s23
	s_mov_b64 s[20:21], 0xffffffff
	v_mul_u64_e32 v[22:23], s[26:27], v[18:19]
	s_and_b64 s[20:21], s[2:3], s[20:21]
	v_mul_u64_e32 v[24:25], s[26:27], v[20:21]
	v_mul_u64_e32 v[16:17], s[20:21], v[20:21]
	s_delay_alu instid0(VALU_DEP_3) | instskip(NEXT) | instid1(VALU_DEP_1)
	v_add_nc_u64_e32 v[22:23], v[26:27], v[22:23]
	v_add_co_u32 v5, vcc_lo, v22, v16
	s_delay_alu instid0(VALU_DEP_2) | instskip(SKIP_1) | instid1(VALU_DEP_1)
	v_add_co_ci_u32_e32 v14, vcc_lo, v23, v17, vcc_lo
	v_add_co_ci_u32_e32 v25, vcc_lo, 0, v25, vcc_lo
	v_add_nc_u64_e32 v[14:15], v[14:15], v[24:25]
	s_delay_alu instid0(VALU_DEP_1) | instskip(NEXT) | instid1(VALU_DEP_1)
	v_mul_u64_e32 v[16:17], s[14:15], v[14:15]
	v_sub_nc_u32_e32 v5, v20, v17
	s_delay_alu instid0(VALU_DEP_2) | instskip(NEXT) | instid1(VALU_DEP_1)
	v_sub_co_u32 v16, vcc_lo, v18, v16
	v_sub_co_ci_u32_e64 v20, null, v20, v17, vcc_lo
	s_delay_alu instid0(VALU_DEP_3) | instskip(NEXT) | instid1(VALU_DEP_3)
	v_subrev_co_ci_u32_e64 v5, null, s15, v5, vcc_lo
	v_sub_co_u32 v18, s2, v16, s14
	s_delay_alu instid0(VALU_DEP_1) | instskip(NEXT) | instid1(VALU_DEP_2)
	v_subrev_co_ci_u32_e64 v5, null, 0, v5, s2
	v_cmp_le_u32_e32 vcc_lo, s14, v18
	v_cndmask_b32_e64 v17, 0, -1, vcc_lo
	s_delay_alu instid0(VALU_DEP_3)
	v_cmp_le_u32_e32 vcc_lo, s15, v5
	v_cndmask_b32_e64 v18, 0, -1, vcc_lo
	v_cmp_le_u32_e32 vcc_lo, s14, v16
	v_cndmask_b32_e64 v21, 0, -1, vcc_lo
	;; [unrolled: 2-line block ×3, first 2 shown]
	v_cmp_eq_u32_e32 vcc_lo, s15, v5
	v_cndmask_b32_e32 v5, v18, v17, vcc_lo
	v_cmp_eq_u32_e32 vcc_lo, s15, v20
	v_add_nc_u64_e32 v[16:17], 2, v[14:15]
	v_add_nc_u64_e32 v[18:19], 1, v[14:15]
	v_cndmask_b32_e32 v20, v22, v21, vcc_lo
	v_cmp_ne_u32_e32 vcc_lo, 0, v5
	s_delay_alu instid0(VALU_DEP_2) | instskip(NEXT) | instid1(VALU_DEP_4)
	v_cmp_ne_u32_e64 s2, 0, v20
	v_dual_cndmask_b32 v16, v18, v16 :: v_dual_cndmask_b32 v5, v19, v17
	s_delay_alu instid0(VALU_DEP_1) | instskip(NEXT) | instid1(VALU_DEP_1)
	v_dual_cndmask_b32 v14, v14, v16, s2 :: v_dual_cndmask_b32 v15, v15, v5, s2
	v_dual_mov_b32 v5, v4 :: v_dual_bitop2_b32 v14, v14, v4 bitop3:0x14
	s_delay_alu instid0(VALU_DEP_2) | instskip(NEXT) | instid1(VALU_DEP_1)
	v_xor_b32_e32 v15, v15, v4
	v_sub_nc_u64_e32 v[4:5], v[14:15], v[4:5]
.LBB30_19:
	s_and_not1_saveexec_b32 s2, s3
	s_cbranch_execz .LBB30_21
; %bb.20:
	v_cvt_f32_u32_e32 v4, s8
	s_sub_co_i32 s3, 0, s8
	s_delay_alu instid0(VALU_DEP_1) | instskip(SKIP_1) | instid1(TRANS32_DEP_1)
	v_rcp_iflag_f32_e32 v4, v4
	v_nop
	v_mul_f32_e32 v4, 0x4f7ffffe, v4
	s_delay_alu instid0(VALU_DEP_1) | instskip(NEXT) | instid1(VALU_DEP_1)
	v_cvt_u32_f32_e32 v4, v4
	v_mul_lo_u32 v5, s3, v4
	s_delay_alu instid0(VALU_DEP_1) | instskip(NEXT) | instid1(VALU_DEP_1)
	v_mul_hi_u32 v5, v4, v5
	v_add_nc_u32_e32 v4, v4, v5
	s_delay_alu instid0(VALU_DEP_1) | instskip(NEXT) | instid1(VALU_DEP_1)
	v_mul_hi_u32 v4, v8, v4
	v_mul_lo_u32 v5, v4, s8
	s_delay_alu instid0(VALU_DEP_1) | instskip(NEXT) | instid1(VALU_DEP_1)
	v_dual_add_nc_u32 v14, 1, v4 :: v_dual_sub_nc_u32 v5, v8, v5
	v_subrev_nc_u32_e32 v15, s8, v5
	v_cmp_le_u32_e32 vcc_lo, s8, v5
	s_delay_alu instid0(VALU_DEP_2) | instskip(NEXT) | instid1(VALU_DEP_1)
	v_dual_cndmask_b32 v5, v5, v15 :: v_dual_cndmask_b32 v4, v4, v14
	v_cmp_le_u32_e32 vcc_lo, s8, v5
	s_delay_alu instid0(VALU_DEP_2) | instskip(NEXT) | instid1(VALU_DEP_1)
	v_dual_mov_b32 v5, 0 :: v_dual_add_nc_u32 v14, 1, v4
	v_cndmask_b32_e32 v4, v4, v14, vcc_lo
.LBB30_21:
	s_or_b32 exec_lo, exec_lo, s2
	s_delay_alu instid0(VALU_DEP_1) | instskip(SKIP_1) | instid1(VALU_DEP_1)
	v_mul_u64_e32 v[14:15], s[8:9], v[4:5]
                                        ; implicit-def: $vgpr16_vgpr17
	s_mov_b32 s2, exec_lo
	v_sub_nc_u64_e32 v[8:9], v[8:9], v[14:15]
	s_delay_alu instid0(VALU_DEP_1) | instskip(NEXT) | instid1(VALU_DEP_1)
	v_dual_mov_b32 v14, 0 :: v_dual_bitop2_b32 v15, s41, v9 bitop3:0x54
	v_cmpx_ne_u64_e32 0, v[14:15]
	s_xor_b32 s3, exec_lo, s2
	s_cbranch_execz .LBB30_23
; %bb.22:
	s_ashr_i32 s8, s41, 31
	s_mov_b32 s25, 0
	s_mov_b32 s9, s8
	v_dual_mov_b32 v21, v14 :: v_dual_ashrrev_i32 v16, 31, v9
	s_add_nc_u64 s[12:13], s[40:41], s[8:9]
	v_dual_mov_b32 v29, v14 :: v_dual_mov_b32 v15, v14
	s_xor_b64 s[12:13], s[12:13], s[8:9]
	s_delay_alu instid0(VALU_DEP_2) | instskip(SKIP_3) | instid1(VALU_DEP_1)
	v_mov_b32_e32 v17, v16
	s_cvt_f32_u32 s2, s12
	s_cvt_f32_u32 s9, s13
	s_sub_nc_u64 s[20:21], 0, s[12:13]
	v_add_nc_u64_e32 v[18:19], v[8:9], v[16:17]
	s_delay_alu instid0(SALU_CYCLE_1) | instskip(SKIP_1) | instid1(SALU_CYCLE_2)
	s_fmamk_f32 s2, s9, 0x4f800000, s2
	v_mov_b32_e32 v23, v14
	v_s_rcp_f32 s2, s2
	s_delay_alu instid0(VALU_DEP_2) | instskip(NEXT) | instid1(VALU_DEP_3)
	v_xor_b32_e32 v20, v18, v16
	v_xor_b32_e32 v22, v19, v16
	;; [unrolled: 1-line block ×3, first 2 shown]
	s_delay_alu instid0(TRANS32_DEP_1) | instskip(NEXT) | instid1(SALU_CYCLE_3)
	s_mul_f32 s2, s2, 0x5f7ffffc
	s_mul_f32 s9, s2, 0x2f800000
	s_delay_alu instid0(SALU_CYCLE_3) | instskip(NEXT) | instid1(SALU_CYCLE_3)
	s_trunc_f32 s9, s9
	s_fmamk_f32 s2, s9, 0xcf800000, s2
	s_cvt_u32_f32 s15, s9
	s_delay_alu instid0(SALU_CYCLE_2) | instskip(NEXT) | instid1(SALU_CYCLE_3)
	s_cvt_u32_f32 s14, s2
	s_mul_u64 s[22:23], s[20:21], s[14:15]
	s_delay_alu instid0(SALU_CYCLE_1)
	s_mul_hi_u32 s27, s14, s23
	s_mul_i32 s26, s14, s23
	s_mul_hi_u32 s24, s14, s22
	s_mul_i32 s9, s15, s22
	s_add_nc_u64 s[26:27], s[24:25], s[26:27]
	s_mul_hi_u32 s2, s15, s22
	s_mul_hi_u32 s28, s15, s23
	s_add_co_u32 s9, s26, s9
	s_add_co_ci_u32 s24, s27, s2
	s_mul_i32 s22, s15, s23
	s_add_co_ci_u32 s23, s28, 0
	s_delay_alu instid0(SALU_CYCLE_1) | instskip(NEXT) | instid1(SALU_CYCLE_1)
	s_add_nc_u64 s[22:23], s[24:25], s[22:23]
	s_add_co_u32 s14, s14, s22
	s_cselect_b32 s2, -1, 0
	s_delay_alu instid0(SALU_CYCLE_1) | instskip(SKIP_1) | instid1(SALU_CYCLE_1)
	s_cmp_lg_u32 s2, 0
	s_add_co_ci_u32 s15, s15, s23
	s_mul_u64 s[20:21], s[20:21], s[14:15]
	s_delay_alu instid0(SALU_CYCLE_1)
	s_mul_hi_u32 s23, s14, s21
	s_mul_i32 s22, s14, s21
	s_mul_hi_u32 s24, s14, s20
	s_mul_i32 s9, s15, s20
	s_add_nc_u64 s[22:23], s[24:25], s[22:23]
	s_mul_hi_u32 s2, s15, s20
	s_mul_hi_u32 s26, s15, s21
	s_add_co_u32 s9, s22, s9
	s_add_co_ci_u32 s24, s23, s2
	s_mul_i32 s20, s15, s21
	s_add_co_ci_u32 s21, s26, 0
	s_delay_alu instid0(SALU_CYCLE_1) | instskip(NEXT) | instid1(SALU_CYCLE_1)
	s_add_nc_u64 s[20:21], s[24:25], s[20:21]
	s_add_co_u32 s2, s14, s20
	s_cselect_b32 s9, -1, 0
	v_mul_hi_u32 v28, v20, s2
	s_cmp_lg_u32 s9, 0
	s_add_co_ci_u32 s24, s15, s21
	s_mov_b64 s[14:15], 0xffffffff
	v_mul_u64_e32 v[24:25], s[24:25], v[20:21]
	s_and_b64 s[14:15], s[2:3], s[14:15]
	v_mul_u64_e32 v[26:27], s[24:25], v[22:23]
	v_mul_u64_e32 v[18:19], s[14:15], v[22:23]
	s_delay_alu instid0(VALU_DEP_3) | instskip(NEXT) | instid1(VALU_DEP_1)
	v_add_nc_u64_e32 v[24:25], v[28:29], v[24:25]
	v_add_co_u32 v14, vcc_lo, v24, v18
	s_delay_alu instid0(VALU_DEP_2) | instskip(SKIP_1) | instid1(VALU_DEP_1)
	v_add_co_ci_u32_e32 v14, vcc_lo, v25, v19, vcc_lo
	v_add_co_ci_u32_e32 v27, vcc_lo, 0, v27, vcc_lo
	v_add_nc_u64_e32 v[14:15], v[14:15], v[26:27]
	s_delay_alu instid0(VALU_DEP_1) | instskip(NEXT) | instid1(VALU_DEP_1)
	v_mul_u64_e32 v[18:19], s[12:13], v[14:15]
	v_sub_nc_u32_e32 v17, v22, v19
	s_delay_alu instid0(VALU_DEP_2) | instskip(NEXT) | instid1(VALU_DEP_1)
	v_sub_co_u32 v18, vcc_lo, v20, v18
	v_sub_co_ci_u32_e64 v22, null, v22, v19, vcc_lo
	s_delay_alu instid0(VALU_DEP_3) | instskip(NEXT) | instid1(VALU_DEP_3)
	v_subrev_co_ci_u32_e64 v17, null, s13, v17, vcc_lo
	v_sub_co_u32 v20, s2, v18, s12
	s_delay_alu instid0(VALU_DEP_1) | instskip(NEXT) | instid1(VALU_DEP_2)
	v_subrev_co_ci_u32_e64 v17, null, 0, v17, s2
	v_cmp_le_u32_e32 vcc_lo, s12, v20
	v_cndmask_b32_e64 v19, 0, -1, vcc_lo
	s_delay_alu instid0(VALU_DEP_3)
	v_cmp_le_u32_e32 vcc_lo, s13, v17
	v_cndmask_b32_e64 v20, 0, -1, vcc_lo
	v_cmp_le_u32_e32 vcc_lo, s12, v18
	v_cndmask_b32_e64 v23, 0, -1, vcc_lo
	;; [unrolled: 2-line block ×3, first 2 shown]
	v_cmp_eq_u32_e32 vcc_lo, s13, v17
	v_cndmask_b32_e32 v17, v20, v19, vcc_lo
	v_cmp_eq_u32_e32 vcc_lo, s13, v22
	v_add_nc_u64_e32 v[18:19], 2, v[14:15]
	v_add_nc_u64_e32 v[20:21], 1, v[14:15]
	v_cndmask_b32_e32 v22, v24, v23, vcc_lo
	v_cmp_ne_u32_e32 vcc_lo, 0, v17
	s_delay_alu instid0(VALU_DEP_2) | instskip(NEXT) | instid1(VALU_DEP_4)
	v_cmp_ne_u32_e64 s2, 0, v22
	v_dual_cndmask_b32 v18, v20, v18 :: v_dual_cndmask_b32 v17, v21, v19
	s_delay_alu instid0(VALU_DEP_1) | instskip(NEXT) | instid1(VALU_DEP_1)
	v_dual_cndmask_b32 v14, v14, v18, s2 :: v_dual_cndmask_b32 v15, v15, v17, s2
	v_dual_mov_b32 v17, v16 :: v_dual_bitop2_b32 v14, v14, v16 bitop3:0x14
	s_delay_alu instid0(VALU_DEP_2) | instskip(NEXT) | instid1(VALU_DEP_1)
	v_xor_b32_e32 v15, v15, v16
	v_sub_nc_u64_e32 v[16:17], v[14:15], v[16:17]
.LBB30_23:
	s_and_not1_saveexec_b32 s2, s3
	s_cbranch_execz .LBB30_25
; %bb.24:
	v_cvt_f32_u32_e32 v14, s40
	s_sub_co_i32 s3, 0, s40
	s_delay_alu instid0(VALU_DEP_1) | instskip(SKIP_1) | instid1(TRANS32_DEP_1)
	v_rcp_iflag_f32_e32 v14, v14
	v_nop
	v_mul_f32_e32 v14, 0x4f7ffffe, v14
	s_delay_alu instid0(VALU_DEP_1) | instskip(NEXT) | instid1(VALU_DEP_1)
	v_cvt_u32_f32_e32 v14, v14
	v_mul_lo_u32 v15, s3, v14
	s_delay_alu instid0(VALU_DEP_1) | instskip(NEXT) | instid1(VALU_DEP_1)
	v_mul_hi_u32 v15, v14, v15
	v_add_nc_u32_e32 v14, v14, v15
	s_delay_alu instid0(VALU_DEP_1) | instskip(NEXT) | instid1(VALU_DEP_1)
	v_mul_hi_u32 v14, v8, v14
	v_mul_lo_u32 v15, v14, s40
	s_delay_alu instid0(VALU_DEP_1) | instskip(NEXT) | instid1(VALU_DEP_1)
	v_dual_add_nc_u32 v16, 1, v14 :: v_dual_sub_nc_u32 v15, v8, v15
	v_subrev_nc_u32_e32 v17, s40, v15
	v_cmp_le_u32_e32 vcc_lo, s40, v15
	s_delay_alu instid0(VALU_DEP_2) | instskip(NEXT) | instid1(VALU_DEP_4)
	v_dual_cndmask_b32 v15, v15, v17, vcc_lo :: v_dual_mov_b32 v17, 0
	v_cndmask_b32_e32 v14, v14, v16, vcc_lo
	s_delay_alu instid0(VALU_DEP_2) | instskip(NEXT) | instid1(VALU_DEP_2)
	v_cmp_le_u32_e32 vcc_lo, s40, v15
	v_add_nc_u32_e32 v16, 1, v14
	s_delay_alu instid0(VALU_DEP_1)
	v_cndmask_b32_e32 v16, v14, v16, vcc_lo
.LBB30_25:
	s_or_b32 exec_lo, exec_lo, s2
	v_mul_u64_e32 v[14:15], s[10:11], v[10:11]
	s_load_b64 s[0:1], s[0:1], 0x80
	s_delay_alu instid0(VALU_DEP_1) | instskip(NEXT) | instid1(VALU_DEP_1)
	v_sub_nc_u64_e32 v[6:7], v[6:7], v[14:15]
	v_mad_nc_u64_u32 v[14:15], v6, s16, s[4:5]
	s_delay_alu instid0(VALU_DEP_1) | instskip(NEXT) | instid1(VALU_DEP_1)
	v_mad_u32 v7, v7, s16, v15
	v_mad_u32 v15, v6, s17, v7
	s_delay_alu instid0(VALU_DEP_1) | instskip(NEXT) | instid1(VALU_DEP_1)
	v_mad_nc_u64_u32 v[6:7], v10, s18, v[14:15]
	v_mad_u32 v7, v11, s18, v7
	s_delay_alu instid0(VALU_DEP_1) | instskip(NEXT) | instid1(VALU_DEP_1)
	v_mad_u32 v7, v10, s19, v7
	v_mad_nc_u64_u32 v[6:7], v2, s36, v[6:7]
	s_delay_alu instid0(VALU_DEP_1) | instskip(NEXT) | instid1(VALU_DEP_1)
	v_mad_u32 v3, v3, s36, v7
	v_mad_u32 v7, v2, s37, v3
	s_delay_alu instid0(VALU_DEP_1) | instskip(NEXT) | instid1(VALU_DEP_1)
	v_mad_nc_u64_u32 v[2:3], v0, s38, v[6:7]
	v_mad_u32 v1, v1, s38, v3
	s_delay_alu instid0(VALU_DEP_1) | instskip(SKIP_4) | instid1(VALU_DEP_1)
	v_mad_u32 v3, v0, s39, v1
	v_mul_u64_e32 v[0:1], s[40:41], v[16:17]
	global_load_b32 v6, v[2:3], off
	v_sub_nc_u64_e32 v[0:1], v[8:9], v[0:1]
	s_wait_xcnt 0x0
	v_mad_nc_u64_u32 v[2:3], v0, s46, s[6:7]
	s_delay_alu instid0(VALU_DEP_1) | instskip(NEXT) | instid1(VALU_DEP_1)
	v_mad_u32 v1, v1, s46, v3
	v_mad_u32 v3, v0, s47, v1
	s_delay_alu instid0(VALU_DEP_1) | instskip(NEXT) | instid1(VALU_DEP_1)
	v_mad_nc_u64_u32 v[0:1], v16, s48, v[2:3]
	v_mad_u32 v1, v17, s48, v1
	s_delay_alu instid0(VALU_DEP_1) | instskip(NEXT) | instid1(VALU_DEP_1)
	v_mad_u32 v1, v16, s49, v1
	v_mad_nc_u64_u32 v[0:1], v4, s50, v[0:1]
	s_delay_alu instid0(VALU_DEP_1) | instskip(NEXT) | instid1(VALU_DEP_1)
	v_mad_u32 v1, v5, s50, v1
	v_mad_u32 v1, v4, s51, v1
	s_wait_kmcnt 0x0
	s_delay_alu instid0(VALU_DEP_1) | instskip(NEXT) | instid1(VALU_DEP_1)
	v_mad_nc_u64_u32 v[0:1], v12, s0, v[0:1]
	v_mad_u32 v1, v13, s0, v1
	s_delay_alu instid0(VALU_DEP_1)
	v_mad_u32 v1, v12, s1, v1
	s_wait_loadcnt 0x0
	global_store_b32 v[0:1], v6, off
.LBB30_26:
	s_endpgm
	.section	.rodata,"a",@progbits
	.p2align	6, 0x0
	.amdhsa_kernel _ZL10cpy_scalarIXadL_ZL12cpy_1_scalarIiiEvPKcPcEEEvS2_S3_lllllllllllllll
		.amdhsa_group_segment_fixed_size 0
		.amdhsa_private_segment_fixed_size 0
		.amdhsa_kernarg_size 392
		.amdhsa_user_sgpr_count 2
		.amdhsa_user_sgpr_dispatch_ptr 0
		.amdhsa_user_sgpr_queue_ptr 0
		.amdhsa_user_sgpr_kernarg_segment_ptr 1
		.amdhsa_user_sgpr_dispatch_id 0
		.amdhsa_user_sgpr_kernarg_preload_length 0
		.amdhsa_user_sgpr_kernarg_preload_offset 0
		.amdhsa_user_sgpr_private_segment_size 0
		.amdhsa_wavefront_size32 1
		.amdhsa_uses_dynamic_stack 0
		.amdhsa_enable_private_segment 0
		.amdhsa_system_sgpr_workgroup_id_x 1
		.amdhsa_system_sgpr_workgroup_id_y 0
		.amdhsa_system_sgpr_workgroup_id_z 0
		.amdhsa_system_sgpr_workgroup_info 0
		.amdhsa_system_vgpr_workitem_id 0
		.amdhsa_next_free_vgpr 30
		.amdhsa_next_free_sgpr 52
		.amdhsa_named_barrier_count 0
		.amdhsa_reserve_vcc 1
		.amdhsa_float_round_mode_32 0
		.amdhsa_float_round_mode_16_64 0
		.amdhsa_float_denorm_mode_32 3
		.amdhsa_float_denorm_mode_16_64 3
		.amdhsa_fp16_overflow 0
		.amdhsa_memory_ordered 1
		.amdhsa_forward_progress 1
		.amdhsa_inst_pref_size 40
		.amdhsa_round_robin_scheduling 0
		.amdhsa_exception_fp_ieee_invalid_op 0
		.amdhsa_exception_fp_denorm_src 0
		.amdhsa_exception_fp_ieee_div_zero 0
		.amdhsa_exception_fp_ieee_overflow 0
		.amdhsa_exception_fp_ieee_underflow 0
		.amdhsa_exception_fp_ieee_inexact 0
		.amdhsa_exception_int_div_zero 0
	.end_amdhsa_kernel
	.section	.text._ZL10cpy_scalarIXadL_ZL12cpy_1_scalarIiiEvPKcPcEEEvS2_S3_lllllllllllllll,"axG",@progbits,_ZL10cpy_scalarIXadL_ZL12cpy_1_scalarIiiEvPKcPcEEEvS2_S3_lllllllllllllll,comdat
.Lfunc_end30:
	.size	_ZL10cpy_scalarIXadL_ZL12cpy_1_scalarIiiEvPKcPcEEEvS2_S3_lllllllllllllll, .Lfunc_end30-_ZL10cpy_scalarIXadL_ZL12cpy_1_scalarIiiEvPKcPcEEEvS2_S3_lllllllllllllll
                                        ; -- End function
	.set _ZL10cpy_scalarIXadL_ZL12cpy_1_scalarIiiEvPKcPcEEEvS2_S3_lllllllllllllll.num_vgpr, 30
	.set _ZL10cpy_scalarIXadL_ZL12cpy_1_scalarIiiEvPKcPcEEEvS2_S3_lllllllllllllll.num_agpr, 0
	.set _ZL10cpy_scalarIXadL_ZL12cpy_1_scalarIiiEvPKcPcEEEvS2_S3_lllllllllllllll.numbered_sgpr, 52
	.set _ZL10cpy_scalarIXadL_ZL12cpy_1_scalarIiiEvPKcPcEEEvS2_S3_lllllllllllllll.num_named_barrier, 0
	.set _ZL10cpy_scalarIXadL_ZL12cpy_1_scalarIiiEvPKcPcEEEvS2_S3_lllllllllllllll.private_seg_size, 0
	.set _ZL10cpy_scalarIXadL_ZL12cpy_1_scalarIiiEvPKcPcEEEvS2_S3_lllllllllllllll.uses_vcc, 1
	.set _ZL10cpy_scalarIXadL_ZL12cpy_1_scalarIiiEvPKcPcEEEvS2_S3_lllllllllllllll.uses_flat_scratch, 0
	.set _ZL10cpy_scalarIXadL_ZL12cpy_1_scalarIiiEvPKcPcEEEvS2_S3_lllllllllllllll.has_dyn_sized_stack, 0
	.set _ZL10cpy_scalarIXadL_ZL12cpy_1_scalarIiiEvPKcPcEEEvS2_S3_lllllllllllllll.has_recursion, 0
	.set _ZL10cpy_scalarIXadL_ZL12cpy_1_scalarIiiEvPKcPcEEEvS2_S3_lllllllllllllll.has_indirect_call, 0
	.section	.AMDGPU.csdata,"",@progbits
; Kernel info:
; codeLenInByte = 5004
; TotalNumSgprs: 54
; NumVgprs: 30
; ScratchSize: 0
; MemoryBound: 0
; FloatMode: 240
; IeeeMode: 1
; LDSByteSize: 0 bytes/workgroup (compile time only)
; SGPRBlocks: 0
; VGPRBlocks: 1
; NumSGPRsForWavesPerEU: 54
; NumVGPRsForWavesPerEU: 30
; NamedBarCnt: 0
; Occupancy: 16
; WaveLimiterHint : 0
; COMPUTE_PGM_RSRC2:SCRATCH_EN: 0
; COMPUTE_PGM_RSRC2:USER_SGPR: 2
; COMPUTE_PGM_RSRC2:TRAP_HANDLER: 0
; COMPUTE_PGM_RSRC2:TGID_X_EN: 1
; COMPUTE_PGM_RSRC2:TGID_Y_EN: 0
; COMPUTE_PGM_RSRC2:TGID_Z_EN: 0
; COMPUTE_PGM_RSRC2:TIDIG_COMP_CNT: 0
	.section	.text._ZL21cpy_scalar_contiguousIfiEvPKcPcl,"axG",@progbits,_ZL21cpy_scalar_contiguousIfiEvPKcPcl,comdat
	.globl	_ZL21cpy_scalar_contiguousIfiEvPKcPcl ; -- Begin function _ZL21cpy_scalar_contiguousIfiEvPKcPcl
	.p2align	8
	.type	_ZL21cpy_scalar_contiguousIfiEvPKcPcl,@function
_ZL21cpy_scalar_contiguousIfiEvPKcPcl:  ; @_ZL21cpy_scalar_contiguousIfiEvPKcPcl
; %bb.0:
	s_clause 0x1
	s_load_b32 s4, s[0:1], 0x24
	s_load_b64 s[2:3], s[0:1], 0x10
	s_bfe_u32 s5, ttmp6, 0x4000c
	s_and_b32 s6, ttmp6, 15
	s_add_co_i32 s5, s5, 1
	s_getreg_b32 s7, hwreg(HW_REG_IB_STS2, 6, 4)
	s_mul_i32 s5, ttmp9, s5
	v_mov_b32_e32 v1, 0
	s_add_co_i32 s6, s6, s5
	s_wait_kmcnt 0x0
	s_and_b32 s4, s4, 0xffff
	s_cmp_eq_u32 s7, 0
	s_cselect_b32 s5, ttmp9, s6
	s_delay_alu instid0(SALU_CYCLE_1) | instskip(NEXT) | instid1(VALU_DEP_1)
	v_mad_nc_u64_u32 v[0:1], s4, s5, v[0:1]
	v_cmp_gt_i64_e32 vcc_lo, s[2:3], v[0:1]
	s_and_saveexec_b32 s2, vcc_lo
	s_cbranch_execz .LBB31_2
; %bb.1:
	s_load_b128 s[0:3], s[0:1], 0x0
	v_lshlrev_b64_e32 v[0:1], 2, v[0:1]
	s_wait_kmcnt 0x0
	s_delay_alu instid0(VALU_DEP_1)
	v_add_nc_u64_e32 v[2:3], s[0:1], v[0:1]
	v_add_nc_u64_e32 v[0:1], s[2:3], v[0:1]
	global_load_b32 v2, v[2:3], off
	s_wait_loadcnt 0x0
	v_cvt_i32_f32_e32 v2, v2
	global_store_b32 v[0:1], v2, off
.LBB31_2:
	s_endpgm
	.section	.rodata,"a",@progbits
	.p2align	6, 0x0
	.amdhsa_kernel _ZL21cpy_scalar_contiguousIfiEvPKcPcl
		.amdhsa_group_segment_fixed_size 0
		.amdhsa_private_segment_fixed_size 0
		.amdhsa_kernarg_size 280
		.amdhsa_user_sgpr_count 2
		.amdhsa_user_sgpr_dispatch_ptr 0
		.amdhsa_user_sgpr_queue_ptr 0
		.amdhsa_user_sgpr_kernarg_segment_ptr 1
		.amdhsa_user_sgpr_dispatch_id 0
		.amdhsa_user_sgpr_kernarg_preload_length 0
		.amdhsa_user_sgpr_kernarg_preload_offset 0
		.amdhsa_user_sgpr_private_segment_size 0
		.amdhsa_wavefront_size32 1
		.amdhsa_uses_dynamic_stack 0
		.amdhsa_enable_private_segment 0
		.amdhsa_system_sgpr_workgroup_id_x 1
		.amdhsa_system_sgpr_workgroup_id_y 0
		.amdhsa_system_sgpr_workgroup_id_z 0
		.amdhsa_system_sgpr_workgroup_info 0
		.amdhsa_system_vgpr_workitem_id 0
		.amdhsa_next_free_vgpr 4
		.amdhsa_next_free_sgpr 8
		.amdhsa_named_barrier_count 0
		.amdhsa_reserve_vcc 1
		.amdhsa_float_round_mode_32 0
		.amdhsa_float_round_mode_16_64 0
		.amdhsa_float_denorm_mode_32 3
		.amdhsa_float_denorm_mode_16_64 3
		.amdhsa_fp16_overflow 0
		.amdhsa_memory_ordered 1
		.amdhsa_forward_progress 1
		.amdhsa_inst_pref_size 2
		.amdhsa_round_robin_scheduling 0
		.amdhsa_exception_fp_ieee_invalid_op 0
		.amdhsa_exception_fp_denorm_src 0
		.amdhsa_exception_fp_ieee_div_zero 0
		.amdhsa_exception_fp_ieee_overflow 0
		.amdhsa_exception_fp_ieee_underflow 0
		.amdhsa_exception_fp_ieee_inexact 0
		.amdhsa_exception_int_div_zero 0
	.end_amdhsa_kernel
	.section	.text._ZL21cpy_scalar_contiguousIfiEvPKcPcl,"axG",@progbits,_ZL21cpy_scalar_contiguousIfiEvPKcPcl,comdat
.Lfunc_end31:
	.size	_ZL21cpy_scalar_contiguousIfiEvPKcPcl, .Lfunc_end31-_ZL21cpy_scalar_contiguousIfiEvPKcPcl
                                        ; -- End function
	.set _ZL21cpy_scalar_contiguousIfiEvPKcPcl.num_vgpr, 4
	.set _ZL21cpy_scalar_contiguousIfiEvPKcPcl.num_agpr, 0
	.set _ZL21cpy_scalar_contiguousIfiEvPKcPcl.numbered_sgpr, 8
	.set _ZL21cpy_scalar_contiguousIfiEvPKcPcl.num_named_barrier, 0
	.set _ZL21cpy_scalar_contiguousIfiEvPKcPcl.private_seg_size, 0
	.set _ZL21cpy_scalar_contiguousIfiEvPKcPcl.uses_vcc, 1
	.set _ZL21cpy_scalar_contiguousIfiEvPKcPcl.uses_flat_scratch, 0
	.set _ZL21cpy_scalar_contiguousIfiEvPKcPcl.has_dyn_sized_stack, 0
	.set _ZL21cpy_scalar_contiguousIfiEvPKcPcl.has_recursion, 0
	.set _ZL21cpy_scalar_contiguousIfiEvPKcPcl.has_indirect_call, 0
	.section	.AMDGPU.csdata,"",@progbits
; Kernel info:
; codeLenInByte = 160
; TotalNumSgprs: 10
; NumVgprs: 4
; ScratchSize: 0
; MemoryBound: 0
; FloatMode: 240
; IeeeMode: 1
; LDSByteSize: 0 bytes/workgroup (compile time only)
; SGPRBlocks: 0
; VGPRBlocks: 0
; NumSGPRsForWavesPerEU: 10
; NumVGPRsForWavesPerEU: 4
; NamedBarCnt: 0
; Occupancy: 16
; WaveLimiterHint : 0
; COMPUTE_PGM_RSRC2:SCRATCH_EN: 0
; COMPUTE_PGM_RSRC2:USER_SGPR: 2
; COMPUTE_PGM_RSRC2:TRAP_HANDLER: 0
; COMPUTE_PGM_RSRC2:TGID_X_EN: 1
; COMPUTE_PGM_RSRC2:TGID_Y_EN: 0
; COMPUTE_PGM_RSRC2:TGID_Z_EN: 0
; COMPUTE_PGM_RSRC2:TIDIG_COMP_CNT: 0
	.section	.text._ZL10cpy_scalarIXadL_ZL12cpy_1_scalarIfiEvPKcPcEEEvS2_S3_lllllllllllllll,"axG",@progbits,_ZL10cpy_scalarIXadL_ZL12cpy_1_scalarIfiEvPKcPcEEEvS2_S3_lllllllllllllll,comdat
	.globl	_ZL10cpy_scalarIXadL_ZL12cpy_1_scalarIfiEvPKcPcEEEvS2_S3_lllllllllllllll ; -- Begin function _ZL10cpy_scalarIXadL_ZL12cpy_1_scalarIfiEvPKcPcEEEvS2_S3_lllllllllllllll
	.p2align	8
	.type	_ZL10cpy_scalarIXadL_ZL12cpy_1_scalarIfiEvPKcPcEEEvS2_S3_lllllllllllllll,@function
_ZL10cpy_scalarIXadL_ZL12cpy_1_scalarIfiEvPKcPcEEEvS2_S3_lllllllllllllll: ; @_ZL10cpy_scalarIXadL_ZL12cpy_1_scalarIfiEvPKcPcEEEvS2_S3_lllllllllllllll
; %bb.0:
	s_load_b32 s2, s[0:1], 0x94
	s_bfe_u32 s4, ttmp6, 0x4000c
	v_mov_b32_e32 v2, 0
	s_add_co_i32 s21, s4, 1
	s_load_b512 s[4:19], s[0:1], 0x0
	s_and_b32 s3, ttmp6, 15
	s_mul_i32 s21, ttmp9, s21
	s_getreg_b32 s20, hwreg(HW_REG_IB_STS2, 6, 4)
	v_mov_b32_e32 v1, v2
	s_add_co_i32 s3, s3, s21
	s_wait_kmcnt 0x0
	s_and_b32 s2, s2, 0xffff
	s_cmp_eq_u32 s20, 0
	s_cselect_b32 s3, ttmp9, s3
	s_delay_alu instid0(SALU_CYCLE_1) | instskip(SKIP_1) | instid1(VALU_DEP_1)
	v_mad_nc_u64_u32 v[4:5], s2, s3, v[0:1]
	s_mov_b32 s2, exec_lo
	v_cmpx_gt_i64_e64 s[8:9], v[4:5]
	s_cbranch_execz .LBB32_26
; %bb.1:
	s_mul_u64 s[8:9], s[12:13], s[10:11]
                                        ; implicit-def: $vgpr0_vgpr1
	s_mov_b32 s2, exec_lo
	s_mul_u64 s[12:13], s[8:9], s[14:15]
	s_delay_alu instid0(SALU_CYCLE_1) | instskip(NEXT) | instid1(VALU_DEP_1)
	v_dual_ashrrev_i32 v8, 31, v5 :: v_dual_bitop2_b32 v3, s13, v5 bitop3:0x54
	v_cmpx_ne_u64_e32 0, v[2:3]
	s_xor_b32 s3, exec_lo, s2
	s_cbranch_execz .LBB32_3
; %bb.2:
	s_ashr_i32 s14, s13, 31
	s_mov_b32 s29, 0
	s_mov_b32 s15, s14
	v_dual_mov_b32 v9, v8 :: v_dual_mov_b32 v3, 0
	s_add_nc_u64 s[20:21], s[12:13], s[14:15]
	s_delay_alu instid0(SALU_CYCLE_1) | instskip(NEXT) | instid1(VALU_DEP_1)
	s_xor_b64 s[20:21], s[20:21], s[14:15]
	v_add_nc_u64_e32 v[0:1], v[4:5], v[8:9]
	s_cvt_f32_u32 s2, s20
	s_cvt_f32_u32 s15, s21
	s_sub_nc_u64 s[24:25], 0, s[20:21]
	v_dual_mov_b32 v7, v3 :: v_dual_mov_b32 v15, v3
	s_delay_alu instid0(SALU_CYCLE_1) | instskip(NEXT) | instid1(VALU_DEP_2)
	s_fmamk_f32 s2, s15, 0x4f800000, s2
	v_xor_b32_e32 v2, v0, v8
	v_xor_b32_e32 v6, v1, v8
	s_delay_alu instid0(SALU_CYCLE_1) | instskip(NEXT) | instid1(TRANS32_DEP_1)
	v_s_rcp_f32 s2, s2
	s_mul_f32 s2, s2, 0x5f7ffffc
	s_delay_alu instid0(SALU_CYCLE_3) | instskip(NEXT) | instid1(SALU_CYCLE_3)
	s_mul_f32 s15, s2, 0x2f800000
	s_trunc_f32 s15, s15
	s_delay_alu instid0(SALU_CYCLE_3) | instskip(SKIP_1) | instid1(SALU_CYCLE_2)
	s_fmamk_f32 s2, s15, 0xcf800000, s2
	s_cvt_u32_f32 s23, s15
	s_cvt_u32_f32 s22, s2
	s_delay_alu instid0(SALU_CYCLE_3) | instskip(NEXT) | instid1(SALU_CYCLE_1)
	s_mul_u64 s[26:27], s[24:25], s[22:23]
	s_mul_hi_u32 s31, s22, s27
	s_mul_i32 s30, s22, s27
	s_mul_hi_u32 s28, s22, s26
	s_mul_i32 s15, s23, s26
	s_add_nc_u64 s[30:31], s[28:29], s[30:31]
	s_mul_hi_u32 s2, s23, s26
	s_mul_hi_u32 s33, s23, s27
	s_add_co_u32 s15, s30, s15
	s_add_co_ci_u32 s28, s31, s2
	s_mul_i32 s26, s23, s27
	s_add_co_ci_u32 s27, s33, 0
	s_delay_alu instid0(SALU_CYCLE_1) | instskip(NEXT) | instid1(SALU_CYCLE_1)
	s_add_nc_u64 s[26:27], s[28:29], s[26:27]
	s_add_co_u32 s22, s22, s26
	s_cselect_b32 s2, -1, 0
	s_delay_alu instid0(SALU_CYCLE_1) | instskip(SKIP_1) | instid1(SALU_CYCLE_1)
	s_cmp_lg_u32 s2, 0
	s_add_co_ci_u32 s23, s23, s27
	s_mul_u64 s[24:25], s[24:25], s[22:23]
	s_delay_alu instid0(SALU_CYCLE_1)
	s_mul_hi_u32 s27, s22, s25
	s_mul_i32 s26, s22, s25
	s_mul_hi_u32 s28, s22, s24
	s_mul_i32 s15, s23, s24
	s_add_nc_u64 s[26:27], s[28:29], s[26:27]
	s_mul_hi_u32 s2, s23, s24
	s_mul_hi_u32 s30, s23, s25
	s_add_co_u32 s15, s26, s15
	s_add_co_ci_u32 s28, s27, s2
	s_mul_i32 s24, s23, s25
	s_add_co_ci_u32 s25, s30, 0
	s_delay_alu instid0(SALU_CYCLE_1) | instskip(NEXT) | instid1(SALU_CYCLE_1)
	s_add_nc_u64 s[24:25], s[28:29], s[24:25]
	s_add_co_u32 s2, s22, s24
	s_cselect_b32 s15, -1, 0
	v_nop
	v_mul_hi_u32 v14, v2, s2
	s_cmp_lg_u32 s15, 0
	s_add_co_ci_u32 s28, s23, s25
	s_mov_b64 s[22:23], 0xffffffff
	v_mul_u64_e32 v[10:11], s[28:29], v[2:3]
	s_and_b64 s[22:23], s[2:3], s[22:23]
	v_mul_u64_e32 v[12:13], s[28:29], v[6:7]
	v_mul_u64_e32 v[0:1], s[22:23], v[6:7]
	s_delay_alu instid0(VALU_DEP_3) | instskip(NEXT) | instid1(VALU_DEP_1)
	v_add_nc_u64_e32 v[10:11], v[14:15], v[10:11]
	v_add_co_u32 v0, vcc_lo, v10, v0
	s_delay_alu instid0(VALU_DEP_2) | instskip(SKIP_1) | instid1(VALU_DEP_1)
	v_add_co_ci_u32_e32 v14, vcc_lo, v11, v1, vcc_lo
	v_add_co_ci_u32_e32 v13, vcc_lo, 0, v13, vcc_lo
	v_add_nc_u64_e32 v[0:1], v[14:15], v[12:13]
	s_delay_alu instid0(VALU_DEP_1) | instskip(NEXT) | instid1(VALU_DEP_1)
	v_mul_u64_e32 v[10:11], s[20:21], v[0:1]
	v_sub_nc_u32_e32 v3, v6, v11
	s_delay_alu instid0(VALU_DEP_2) | instskip(NEXT) | instid1(VALU_DEP_1)
	v_sub_co_u32 v2, vcc_lo, v2, v10
	v_sub_co_ci_u32_e64 v9, null, v6, v11, vcc_lo
	s_delay_alu instid0(VALU_DEP_3) | instskip(NEXT) | instid1(VALU_DEP_3)
	v_subrev_co_ci_u32_e64 v3, null, s21, v3, vcc_lo
	v_sub_co_u32 v7, s2, v2, s20
	s_delay_alu instid0(VALU_DEP_1) | instskip(NEXT) | instid1(VALU_DEP_2)
	v_subrev_co_ci_u32_e64 v3, null, 0, v3, s2
	v_cmp_le_u32_e32 vcc_lo, s20, v7
	v_cndmask_b32_e64 v6, 0, -1, vcc_lo
	s_delay_alu instid0(VALU_DEP_3)
	v_cmp_le_u32_e32 vcc_lo, s21, v3
	v_cndmask_b32_e64 v7, 0, -1, vcc_lo
	v_cmp_le_u32_e32 vcc_lo, s20, v2
	v_cndmask_b32_e64 v10, 0, -1, vcc_lo
	;; [unrolled: 2-line block ×3, first 2 shown]
	v_cmp_eq_u32_e32 vcc_lo, s21, v3
	v_add_nc_u64_e32 v[2:3], 2, v[0:1]
	v_cndmask_b32_e32 v12, v7, v6, vcc_lo
	v_cmp_eq_u32_e32 vcc_lo, s21, v9
	v_add_nc_u64_e32 v[6:7], 1, v[0:1]
	v_cndmask_b32_e32 v9, v11, v10, vcc_lo
	s_delay_alu instid0(VALU_DEP_4) | instskip(NEXT) | instid1(VALU_DEP_3)
	v_cmp_ne_u32_e32 vcc_lo, 0, v12
	v_dual_cndmask_b32 v3, v7, v3 :: v_dual_cndmask_b32 v6, v6, v2
	v_xor_b32_e32 v2, s14, v8
	s_delay_alu instid0(VALU_DEP_4) | instskip(NEXT) | instid1(VALU_DEP_1)
	v_cmp_ne_u32_e64 s2, 0, v9
	v_dual_cndmask_b32 v1, v1, v3, s2 :: v_dual_cndmask_b32 v0, v0, v6, s2
	s_delay_alu instid0(VALU_DEP_1) | instskip(NEXT) | instid1(VALU_DEP_2)
	v_dual_mov_b32 v3, v2 :: v_dual_bitop2_b32 v1, v1, v2 bitop3:0x14
	v_xor_b32_e32 v0, v0, v2
	s_delay_alu instid0(VALU_DEP_1)
	v_sub_nc_u64_e32 v[0:1], v[0:1], v[2:3]
.LBB32_3:
	s_and_not1_saveexec_b32 s2, s3
	s_cbranch_execz .LBB32_5
; %bb.4:
	v_cvt_f32_u32_e32 v0, s12
	s_sub_co_i32 s3, 0, s12
	s_delay_alu instid0(VALU_DEP_1) | instskip(SKIP_1) | instid1(TRANS32_DEP_1)
	v_rcp_iflag_f32_e32 v0, v0
	v_nop
	v_mul_f32_e32 v0, 0x4f7ffffe, v0
	s_delay_alu instid0(VALU_DEP_1) | instskip(NEXT) | instid1(VALU_DEP_1)
	v_cvt_u32_f32_e32 v0, v0
	v_mul_lo_u32 v1, s3, v0
	s_delay_alu instid0(VALU_DEP_1) | instskip(NEXT) | instid1(VALU_DEP_1)
	v_mul_hi_u32 v1, v0, v1
	v_add_nc_u32_e32 v0, v0, v1
	s_delay_alu instid0(VALU_DEP_1) | instskip(NEXT) | instid1(VALU_DEP_1)
	v_mul_hi_u32 v0, v4, v0
	v_mul_lo_u32 v1, v0, s12
	s_delay_alu instid0(VALU_DEP_1) | instskip(NEXT) | instid1(VALU_DEP_1)
	v_dual_add_nc_u32 v2, 1, v0 :: v_dual_sub_nc_u32 v1, v4, v1
	v_subrev_nc_u32_e32 v3, s12, v1
	v_cmp_le_u32_e32 vcc_lo, s12, v1
	s_delay_alu instid0(VALU_DEP_2) | instskip(NEXT) | instid1(VALU_DEP_1)
	v_dual_cndmask_b32 v1, v1, v3 :: v_dual_cndmask_b32 v0, v0, v2
	v_cmp_le_u32_e32 vcc_lo, s12, v1
	s_delay_alu instid0(VALU_DEP_2) | instskip(NEXT) | instid1(VALU_DEP_1)
	v_dual_mov_b32 v1, 0 :: v_dual_add_nc_u32 v2, 1, v0
	v_cndmask_b32_e32 v0, v0, v2, vcc_lo
.LBB32_5:
	s_or_b32 exec_lo, exec_lo, s2
	s_delay_alu instid0(VALU_DEP_1) | instskip(SKIP_2) | instid1(VALU_DEP_2)
	v_mul_u64_e32 v[2:3], s[12:13], v[0:1]
	s_mov_b32 s2, exec_lo
	v_mov_b32_e32 v10, 0
	v_sub_nc_u64_e32 v[6:7], v[4:5], v[2:3]
                                        ; implicit-def: $vgpr2_vgpr3
	s_delay_alu instid0(VALU_DEP_1) | instskip(NEXT) | instid1(VALU_DEP_1)
	v_or_b32_e32 v11, s9, v7
	v_cmpx_ne_u64_e32 0, v[10:11]
	s_xor_b32 s3, exec_lo, s2
	s_cbranch_execz .LBB32_7
; %bb.6:
	s_ashr_i32 s12, s9, 31
	s_mov_b32 s27, 0
	s_mov_b32 s13, s12
	v_dual_mov_b32 v15, v10 :: v_dual_ashrrev_i32 v2, 31, v7
	s_add_nc_u64 s[14:15], s[8:9], s[12:13]
	v_dual_mov_b32 v23, v10 :: v_dual_mov_b32 v11, v10
	s_xor_b64 s[14:15], s[14:15], s[12:13]
	s_delay_alu instid0(VALU_DEP_2) | instskip(SKIP_3) | instid1(VALU_DEP_1)
	v_mov_b32_e32 v3, v2
	s_cvt_f32_u32 s2, s14
	s_cvt_f32_u32 s13, s15
	s_sub_nc_u64 s[22:23], 0, s[14:15]
	v_add_nc_u64_e32 v[12:13], v[6:7], v[2:3]
	s_delay_alu instid0(SALU_CYCLE_1) | instskip(SKIP_1) | instid1(SALU_CYCLE_2)
	s_fmamk_f32 s2, s13, 0x4f800000, s2
	v_mov_b32_e32 v17, v10
	v_s_rcp_f32 s2, s2
	s_delay_alu instid0(VALU_DEP_2) | instskip(NEXT) | instid1(VALU_DEP_3)
	v_xor_b32_e32 v14, v12, v2
	v_xor_b32_e32 v16, v13, v2
	;; [unrolled: 1-line block ×3, first 2 shown]
	s_delay_alu instid0(TRANS32_DEP_1) | instskip(NEXT) | instid1(SALU_CYCLE_3)
	s_mul_f32 s2, s2, 0x5f7ffffc
	s_mul_f32 s13, s2, 0x2f800000
	s_delay_alu instid0(SALU_CYCLE_3) | instskip(NEXT) | instid1(SALU_CYCLE_3)
	s_trunc_f32 s13, s13
	s_fmamk_f32 s2, s13, 0xcf800000, s2
	s_cvt_u32_f32 s21, s13
	s_delay_alu instid0(SALU_CYCLE_2) | instskip(NEXT) | instid1(SALU_CYCLE_3)
	s_cvt_u32_f32 s20, s2
	s_mul_u64 s[24:25], s[22:23], s[20:21]
	s_delay_alu instid0(SALU_CYCLE_1)
	s_mul_hi_u32 s29, s20, s25
	s_mul_i32 s28, s20, s25
	s_mul_hi_u32 s26, s20, s24
	s_mul_i32 s13, s21, s24
	s_add_nc_u64 s[28:29], s[26:27], s[28:29]
	s_mul_hi_u32 s2, s21, s24
	s_mul_hi_u32 s30, s21, s25
	s_add_co_u32 s13, s28, s13
	s_add_co_ci_u32 s26, s29, s2
	s_mul_i32 s24, s21, s25
	s_add_co_ci_u32 s25, s30, 0
	s_delay_alu instid0(SALU_CYCLE_1) | instskip(NEXT) | instid1(SALU_CYCLE_1)
	s_add_nc_u64 s[24:25], s[26:27], s[24:25]
	s_add_co_u32 s20, s20, s24
	s_cselect_b32 s2, -1, 0
	s_delay_alu instid0(SALU_CYCLE_1) | instskip(SKIP_1) | instid1(SALU_CYCLE_1)
	s_cmp_lg_u32 s2, 0
	s_add_co_ci_u32 s21, s21, s25
	s_mul_u64 s[22:23], s[22:23], s[20:21]
	s_delay_alu instid0(SALU_CYCLE_1)
	s_mul_hi_u32 s25, s20, s23
	s_mul_i32 s24, s20, s23
	s_mul_hi_u32 s26, s20, s22
	s_mul_i32 s13, s21, s22
	s_add_nc_u64 s[24:25], s[26:27], s[24:25]
	s_mul_hi_u32 s2, s21, s22
	s_mul_hi_u32 s28, s21, s23
	s_add_co_u32 s13, s24, s13
	s_add_co_ci_u32 s26, s25, s2
	s_mul_i32 s22, s21, s23
	s_add_co_ci_u32 s23, s28, 0
	s_delay_alu instid0(SALU_CYCLE_1) | instskip(NEXT) | instid1(SALU_CYCLE_1)
	s_add_nc_u64 s[22:23], s[26:27], s[22:23]
	s_add_co_u32 s2, s20, s22
	s_cselect_b32 s13, -1, 0
	v_mul_hi_u32 v22, v14, s2
	s_cmp_lg_u32 s13, 0
	s_add_co_ci_u32 s26, s21, s23
	s_mov_b64 s[20:21], 0xffffffff
	v_mul_u64_e32 v[18:19], s[26:27], v[14:15]
	s_and_b64 s[20:21], s[2:3], s[20:21]
	v_mul_u64_e32 v[20:21], s[26:27], v[16:17]
	v_mul_u64_e32 v[12:13], s[20:21], v[16:17]
	s_delay_alu instid0(VALU_DEP_3) | instskip(NEXT) | instid1(VALU_DEP_1)
	v_add_nc_u64_e32 v[18:19], v[22:23], v[18:19]
	v_add_co_u32 v3, vcc_lo, v18, v12
	s_delay_alu instid0(VALU_DEP_2) | instskip(SKIP_1) | instid1(VALU_DEP_1)
	v_add_co_ci_u32_e32 v10, vcc_lo, v19, v13, vcc_lo
	v_add_co_ci_u32_e32 v21, vcc_lo, 0, v21, vcc_lo
	v_add_nc_u64_e32 v[10:11], v[10:11], v[20:21]
	s_delay_alu instid0(VALU_DEP_1) | instskip(NEXT) | instid1(VALU_DEP_1)
	v_mul_u64_e32 v[12:13], s[14:15], v[10:11]
	v_sub_co_u32 v9, vcc_lo, v14, v12
	v_add_nc_u64_e32 v[14:15], 1, v[10:11]
	s_delay_alu instid0(VALU_DEP_3) | instskip(SKIP_1) | instid1(VALU_DEP_4)
	v_sub_nc_u32_e32 v3, v16, v13
	v_sub_co_ci_u32_e64 v16, null, v16, v13, vcc_lo
	v_sub_co_u32 v12, s2, v9, s14
	s_delay_alu instid0(VALU_DEP_3) | instskip(NEXT) | instid1(VALU_DEP_2)
	v_subrev_co_ci_u32_e64 v3, null, s15, v3, vcc_lo
	v_cmp_le_u32_e32 vcc_lo, s14, v12
	s_delay_alu instid0(VALU_DEP_2) | instskip(SKIP_1) | instid1(VALU_DEP_2)
	v_subrev_co_ci_u32_e64 v3, null, 0, v3, s2
	v_cndmask_b32_e64 v12, 0, -1, vcc_lo
	v_cmp_le_u32_e32 vcc_lo, s15, v3
	v_cndmask_b32_e64 v13, 0, -1, vcc_lo
	v_cmp_le_u32_e32 vcc_lo, s14, v9
	;; [unrolled: 2-line block ×3, first 2 shown]
	v_cndmask_b32_e64 v17, 0, -1, vcc_lo
	v_cmp_eq_u32_e32 vcc_lo, s15, v3
	v_cndmask_b32_e32 v3, v13, v12, vcc_lo
	v_cmp_eq_u32_e32 vcc_lo, s15, v16
	v_add_nc_u64_e32 v[12:13], 2, v[10:11]
	v_cndmask_b32_e32 v9, v17, v9, vcc_lo
	s_delay_alu instid0(VALU_DEP_4) | instskip(NEXT) | instid1(VALU_DEP_2)
	v_cmp_ne_u32_e32 vcc_lo, 0, v3
	v_cmp_ne_u32_e64 s2, 0, v9
	s_delay_alu instid0(VALU_DEP_4) | instskip(NEXT) | instid1(VALU_DEP_1)
	v_cndmask_b32_e32 v9, v14, v12, vcc_lo
	v_cndmask_b32_e64 v9, v10, v9, s2
	s_delay_alu instid0(VALU_DEP_1) | instskip(NEXT) | instid1(VALU_DEP_1)
	v_dual_cndmask_b32 v3, v15, v13, vcc_lo :: v_dual_bitop2_b32 v10, v9, v2 bitop3:0x14
	v_dual_cndmask_b32 v11, v11, v3, s2 :: v_dual_mov_b32 v3, v2
	s_delay_alu instid0(VALU_DEP_1) | instskip(NEXT) | instid1(VALU_DEP_1)
	v_xor_b32_e32 v11, v11, v2
	v_sub_nc_u64_e32 v[2:3], v[10:11], v[2:3]
.LBB32_7:
	s_and_not1_saveexec_b32 s2, s3
	s_cbranch_execz .LBB32_9
; %bb.8:
	v_cvt_f32_u32_e32 v2, s8
	s_sub_co_i32 s3, 0, s8
	s_delay_alu instid0(VALU_DEP_1) | instskip(SKIP_1) | instid1(TRANS32_DEP_1)
	v_rcp_iflag_f32_e32 v2, v2
	v_nop
	v_mul_f32_e32 v2, 0x4f7ffffe, v2
	s_delay_alu instid0(VALU_DEP_1) | instskip(NEXT) | instid1(VALU_DEP_1)
	v_cvt_u32_f32_e32 v2, v2
	v_mul_lo_u32 v3, s3, v2
	s_delay_alu instid0(VALU_DEP_1) | instskip(NEXT) | instid1(VALU_DEP_1)
	v_mul_hi_u32 v3, v2, v3
	v_add_nc_u32_e32 v2, v2, v3
	s_delay_alu instid0(VALU_DEP_1) | instskip(NEXT) | instid1(VALU_DEP_1)
	v_mul_hi_u32 v2, v6, v2
	v_mul_lo_u32 v3, v2, s8
	s_delay_alu instid0(VALU_DEP_1) | instskip(NEXT) | instid1(VALU_DEP_1)
	v_dual_add_nc_u32 v9, 1, v2 :: v_dual_sub_nc_u32 v3, v6, v3
	v_subrev_nc_u32_e32 v10, s8, v3
	v_cmp_le_u32_e32 vcc_lo, s8, v3
	s_delay_alu instid0(VALU_DEP_2) | instskip(NEXT) | instid1(VALU_DEP_1)
	v_dual_cndmask_b32 v3, v3, v10 :: v_dual_cndmask_b32 v2, v2, v9
	v_cmp_le_u32_e32 vcc_lo, s8, v3
	s_delay_alu instid0(VALU_DEP_2) | instskip(NEXT) | instid1(VALU_DEP_1)
	v_dual_add_nc_u32 v9, 1, v2 :: v_dual_mov_b32 v3, 0
	v_cndmask_b32_e32 v2, v2, v9, vcc_lo
.LBB32_9:
	s_or_b32 exec_lo, exec_lo, s2
	s_delay_alu instid0(VALU_DEP_1) | instskip(SKIP_2) | instid1(VALU_DEP_2)
	v_mul_u64_e32 v[10:11], s[8:9], v[2:3]
	s_mov_b32 s2, exec_lo
	v_mov_b32_e32 v12, 0
	v_sub_nc_u64_e32 v[6:7], v[6:7], v[10:11]
                                        ; implicit-def: $vgpr10_vgpr11
	s_delay_alu instid0(VALU_DEP_1) | instskip(NEXT) | instid1(VALU_DEP_1)
	v_or_b32_e32 v13, s11, v7
	v_cmpx_ne_u64_e32 0, v[12:13]
	s_xor_b32 s3, exec_lo, s2
	s_cbranch_execz .LBB32_11
; %bb.10:
	s_ashr_i32 s8, s11, 31
	s_mov_b32 s25, 0
	s_mov_b32 s9, s8
	v_dual_mov_b32 v17, v12 :: v_dual_ashrrev_i32 v10, 31, v7
	s_add_nc_u64 s[12:13], s[10:11], s[8:9]
	v_mov_b32_e32 v19, v12
	s_xor_b64 s[12:13], s[12:13], s[8:9]
	s_delay_alu instid0(VALU_DEP_2)
	v_mov_b32_e32 v11, v10
	s_cvt_f32_u32 s2, s12
	s_cvt_f32_u32 s9, s13
	s_sub_nc_u64 s[20:21], 0, s[12:13]
	v_mov_b32_e32 v25, v12
	v_add_nc_u64_e32 v[14:15], v[6:7], v[10:11]
	s_fmamk_f32 s2, s9, 0x4f800000, s2
	v_mov_b32_e32 v13, v12
	s_delay_alu instid0(SALU_CYCLE_2) | instskip(NEXT) | instid1(VALU_DEP_2)
	v_s_rcp_f32 s2, s2
	v_xor_b32_e32 v16, v14, v10
	s_delay_alu instid0(VALU_DEP_3) | instskip(SKIP_1) | instid1(TRANS32_DEP_1)
	v_xor_b32_e32 v18, v15, v10
	v_xor_b32_e32 v10, s8, v10
	s_mul_f32 s2, s2, 0x5f7ffffc
	s_delay_alu instid0(SALU_CYCLE_3) | instskip(NEXT) | instid1(SALU_CYCLE_3)
	s_mul_f32 s9, s2, 0x2f800000
	s_trunc_f32 s9, s9
	s_delay_alu instid0(SALU_CYCLE_3) | instskip(SKIP_1) | instid1(SALU_CYCLE_2)
	s_fmamk_f32 s2, s9, 0xcf800000, s2
	s_cvt_u32_f32 s15, s9
	s_cvt_u32_f32 s14, s2
	s_delay_alu instid0(SALU_CYCLE_3) | instskip(NEXT) | instid1(SALU_CYCLE_1)
	s_mul_u64 s[22:23], s[20:21], s[14:15]
	s_mul_hi_u32 s27, s14, s23
	s_mul_i32 s26, s14, s23
	s_mul_hi_u32 s24, s14, s22
	s_mul_i32 s9, s15, s22
	s_add_nc_u64 s[26:27], s[24:25], s[26:27]
	s_mul_hi_u32 s2, s15, s22
	s_mul_hi_u32 s28, s15, s23
	s_add_co_u32 s9, s26, s9
	s_add_co_ci_u32 s24, s27, s2
	s_mul_i32 s22, s15, s23
	s_add_co_ci_u32 s23, s28, 0
	s_delay_alu instid0(SALU_CYCLE_1) | instskip(NEXT) | instid1(SALU_CYCLE_1)
	s_add_nc_u64 s[22:23], s[24:25], s[22:23]
	s_add_co_u32 s14, s14, s22
	s_cselect_b32 s2, -1, 0
	s_delay_alu instid0(SALU_CYCLE_1) | instskip(SKIP_1) | instid1(SALU_CYCLE_1)
	s_cmp_lg_u32 s2, 0
	s_add_co_ci_u32 s15, s15, s23
	s_mul_u64 s[20:21], s[20:21], s[14:15]
	s_delay_alu instid0(SALU_CYCLE_1)
	s_mul_hi_u32 s23, s14, s21
	s_mul_i32 s22, s14, s21
	s_mul_hi_u32 s24, s14, s20
	s_mul_i32 s9, s15, s20
	s_add_nc_u64 s[22:23], s[24:25], s[22:23]
	s_mul_hi_u32 s2, s15, s20
	s_mul_hi_u32 s26, s15, s21
	s_add_co_u32 s9, s22, s9
	s_add_co_ci_u32 s24, s23, s2
	s_mul_i32 s20, s15, s21
	s_add_co_ci_u32 s21, s26, 0
	s_delay_alu instid0(SALU_CYCLE_1) | instskip(NEXT) | instid1(SALU_CYCLE_1)
	s_add_nc_u64 s[20:21], s[24:25], s[20:21]
	s_add_co_u32 s2, s14, s20
	s_cselect_b32 s9, -1, 0
	v_mul_hi_u32 v24, v16, s2
	s_cmp_lg_u32 s9, 0
	s_add_co_ci_u32 s24, s15, s21
	s_mov_b64 s[14:15], 0xffffffff
	v_mul_u64_e32 v[20:21], s[24:25], v[16:17]
	s_and_b64 s[14:15], s[2:3], s[14:15]
	v_mul_u64_e32 v[22:23], s[24:25], v[18:19]
	v_mul_u64_e32 v[14:15], s[14:15], v[18:19]
	s_delay_alu instid0(VALU_DEP_3) | instskip(NEXT) | instid1(VALU_DEP_1)
	v_add_nc_u64_e32 v[20:21], v[24:25], v[20:21]
	v_add_co_u32 v9, vcc_lo, v20, v14
	s_delay_alu instid0(VALU_DEP_2) | instskip(SKIP_1) | instid1(VALU_DEP_1)
	v_add_co_ci_u32_e32 v12, vcc_lo, v21, v15, vcc_lo
	v_add_co_ci_u32_e32 v23, vcc_lo, 0, v23, vcc_lo
	v_add_nc_u64_e32 v[12:13], v[12:13], v[22:23]
	s_delay_alu instid0(VALU_DEP_1) | instskip(NEXT) | instid1(VALU_DEP_1)
	v_mul_u64_e32 v[14:15], s[12:13], v[12:13]
	v_sub_co_u32 v11, vcc_lo, v16, v14
	v_add_nc_u64_e32 v[16:17], 1, v[12:13]
	s_delay_alu instid0(VALU_DEP_3) | instskip(SKIP_1) | instid1(VALU_DEP_4)
	v_sub_nc_u32_e32 v9, v18, v15
	v_sub_co_ci_u32_e64 v18, null, v18, v15, vcc_lo
	v_sub_co_u32 v14, s2, v11, s12
	s_delay_alu instid0(VALU_DEP_3) | instskip(NEXT) | instid1(VALU_DEP_2)
	v_subrev_co_ci_u32_e64 v9, null, s13, v9, vcc_lo
	v_cmp_le_u32_e32 vcc_lo, s12, v14
	s_delay_alu instid0(VALU_DEP_2) | instskip(SKIP_1) | instid1(VALU_DEP_2)
	v_subrev_co_ci_u32_e64 v9, null, 0, v9, s2
	v_cndmask_b32_e64 v14, 0, -1, vcc_lo
	v_cmp_le_u32_e32 vcc_lo, s13, v9
	v_cndmask_b32_e64 v15, 0, -1, vcc_lo
	v_cmp_le_u32_e32 vcc_lo, s12, v11
	;; [unrolled: 2-line block ×3, first 2 shown]
	v_cndmask_b32_e64 v19, 0, -1, vcc_lo
	v_cmp_eq_u32_e32 vcc_lo, s13, v9
	v_cndmask_b32_e32 v9, v15, v14, vcc_lo
	v_cmp_eq_u32_e32 vcc_lo, s13, v18
	v_add_nc_u64_e32 v[14:15], 2, v[12:13]
	v_cndmask_b32_e32 v11, v19, v11, vcc_lo
	s_delay_alu instid0(VALU_DEP_4) | instskip(NEXT) | instid1(VALU_DEP_2)
	v_cmp_ne_u32_e32 vcc_lo, 0, v9
	v_cmp_ne_u32_e64 s2, 0, v11
	s_delay_alu instid0(VALU_DEP_4) | instskip(NEXT) | instid1(VALU_DEP_1)
	v_dual_cndmask_b32 v9, v17, v15, vcc_lo :: v_dual_cndmask_b32 v11, v16, v14, vcc_lo
	v_dual_cndmask_b32 v12, v12, v11, s2 :: v_dual_mov_b32 v11, v10
	s_delay_alu instid0(VALU_DEP_1) | instskip(NEXT) | instid1(VALU_DEP_1)
	v_dual_cndmask_b32 v9, v13, v9, s2 :: v_dual_bitop2_b32 v12, v12, v10 bitop3:0x14
	v_xor_b32_e32 v13, v9, v10
	s_delay_alu instid0(VALU_DEP_1)
	v_sub_nc_u64_e32 v[10:11], v[12:13], v[10:11]
.LBB32_11:
	s_and_not1_saveexec_b32 s2, s3
	s_cbranch_execz .LBB32_13
; %bb.12:
	v_cvt_f32_u32_e32 v9, s10
	s_sub_co_i32 s3, 0, s10
	s_delay_alu instid0(VALU_DEP_1) | instskip(SKIP_1) | instid1(TRANS32_DEP_1)
	v_rcp_iflag_f32_e32 v9, v9
	v_nop
	v_mul_f32_e32 v9, 0x4f7ffffe, v9
	s_delay_alu instid0(VALU_DEP_1) | instskip(NEXT) | instid1(VALU_DEP_1)
	v_cvt_u32_f32_e32 v9, v9
	v_mul_lo_u32 v10, s3, v9
	s_delay_alu instid0(VALU_DEP_1) | instskip(NEXT) | instid1(VALU_DEP_1)
	v_mul_hi_u32 v10, v9, v10
	v_add_nc_u32_e32 v9, v9, v10
	s_delay_alu instid0(VALU_DEP_1) | instskip(NEXT) | instid1(VALU_DEP_1)
	v_mul_hi_u32 v9, v6, v9
	v_mul_lo_u32 v10, v9, s10
	s_delay_alu instid0(VALU_DEP_1) | instskip(NEXT) | instid1(VALU_DEP_1)
	v_dual_add_nc_u32 v11, 1, v9 :: v_dual_sub_nc_u32 v10, v6, v10
	v_subrev_nc_u32_e32 v12, s10, v10
	v_cmp_le_u32_e32 vcc_lo, s10, v10
	s_delay_alu instid0(VALU_DEP_2) | instskip(NEXT) | instid1(VALU_DEP_1)
	v_dual_cndmask_b32 v10, v10, v12 :: v_dual_cndmask_b32 v9, v9, v11
	v_cmp_le_u32_e32 vcc_lo, s10, v10
	s_delay_alu instid0(VALU_DEP_2) | instskip(NEXT) | instid1(VALU_DEP_1)
	v_add_nc_u32_e32 v11, 1, v9
	v_dual_cndmask_b32 v10, v9, v11 :: v_dual_mov_b32 v11, 0
.LBB32_13:
	s_or_b32 exec_lo, exec_lo, s2
	s_load_b512 s[36:51], s[0:1], 0x40
                                        ; implicit-def: $vgpr12_vgpr13
	s_mov_b32 s2, exec_lo
	v_mov_b32_e32 v14, 0
	s_wait_kmcnt 0x0
	s_mul_u64 s[8:9], s[42:43], s[40:41]
	s_delay_alu instid0(SALU_CYCLE_1) | instskip(NEXT) | instid1(SALU_CYCLE_1)
	s_mul_u64 s[12:13], s[8:9], s[44:45]
	v_or_b32_e32 v15, s13, v5
	s_delay_alu instid0(VALU_DEP_1)
	v_cmpx_ne_u64_e32 0, v[14:15]
	s_xor_b32 s3, exec_lo, s2
	s_cbranch_execz .LBB32_15
; %bb.14:
	s_ashr_i32 s14, s13, 31
	s_mov_b32 s29, 0
	s_mov_b32 s15, s14
	v_dual_mov_b32 v9, v8 :: v_dual_mov_b32 v17, v14
	s_add_nc_u64 s[20:21], s[12:13], s[14:15]
	v_mov_b32_e32 v15, v14
	s_xor_b64 s[20:21], s[20:21], s[14:15]
	s_delay_alu instid0(VALU_DEP_2) | instskip(SKIP_4) | instid1(SALU_CYCLE_1)
	v_add_nc_u64_e32 v[12:13], v[4:5], v[8:9]
	s_cvt_f32_u32 s2, s20
	s_cvt_f32_u32 s15, s21
	s_sub_nc_u64 s[24:25], 0, s[20:21]
	v_dual_mov_b32 v19, v14 :: v_dual_mov_b32 v25, v14
	s_fmamk_f32 s2, s15, 0x4f800000, s2
	s_delay_alu instid0(VALU_DEP_2) | instskip(SKIP_3) | instid1(TRANS32_DEP_1)
	v_xor_b32_e32 v16, v12, v8
	v_xor_b32_e32 v18, v13, v8
	;; [unrolled: 1-line block ×3, first 2 shown]
	v_s_rcp_f32 s2, s2
	s_mul_f32 s2, s2, 0x5f7ffffc
	s_delay_alu instid0(SALU_CYCLE_3) | instskip(NEXT) | instid1(SALU_CYCLE_3)
	s_mul_f32 s15, s2, 0x2f800000
	s_trunc_f32 s15, s15
	s_delay_alu instid0(SALU_CYCLE_3) | instskip(SKIP_1) | instid1(SALU_CYCLE_2)
	s_fmamk_f32 s2, s15, 0xcf800000, s2
	s_cvt_u32_f32 s23, s15
	s_cvt_u32_f32 s22, s2
	s_delay_alu instid0(SALU_CYCLE_3) | instskip(NEXT) | instid1(SALU_CYCLE_1)
	s_mul_u64 s[26:27], s[24:25], s[22:23]
	s_mul_hi_u32 s31, s22, s27
	s_mul_i32 s30, s22, s27
	s_mul_hi_u32 s28, s22, s26
	s_mul_i32 s15, s23, s26
	s_add_nc_u64 s[30:31], s[28:29], s[30:31]
	s_mul_hi_u32 s2, s23, s26
	s_mul_hi_u32 s33, s23, s27
	s_add_co_u32 s15, s30, s15
	s_add_co_ci_u32 s28, s31, s2
	s_mul_i32 s26, s23, s27
	s_add_co_ci_u32 s27, s33, 0
	s_delay_alu instid0(SALU_CYCLE_1) | instskip(NEXT) | instid1(SALU_CYCLE_1)
	s_add_nc_u64 s[26:27], s[28:29], s[26:27]
	s_add_co_u32 s22, s22, s26
	s_cselect_b32 s2, -1, 0
	s_delay_alu instid0(SALU_CYCLE_1) | instskip(SKIP_1) | instid1(SALU_CYCLE_1)
	s_cmp_lg_u32 s2, 0
	s_add_co_ci_u32 s23, s23, s27
	s_mul_u64 s[24:25], s[24:25], s[22:23]
	s_delay_alu instid0(SALU_CYCLE_1)
	s_mul_hi_u32 s27, s22, s25
	s_mul_i32 s26, s22, s25
	s_mul_hi_u32 s28, s22, s24
	s_mul_i32 s15, s23, s24
	s_add_nc_u64 s[26:27], s[28:29], s[26:27]
	s_mul_hi_u32 s2, s23, s24
	s_mul_hi_u32 s30, s23, s25
	s_add_co_u32 s15, s26, s15
	s_add_co_ci_u32 s28, s27, s2
	s_mul_i32 s24, s23, s25
	s_add_co_ci_u32 s25, s30, 0
	s_delay_alu instid0(SALU_CYCLE_1) | instskip(NEXT) | instid1(SALU_CYCLE_1)
	s_add_nc_u64 s[24:25], s[28:29], s[24:25]
	s_add_co_u32 s2, s22, s24
	s_cselect_b32 s15, -1, 0
	v_nop
	v_mul_hi_u32 v24, v16, s2
	s_cmp_lg_u32 s15, 0
	s_add_co_ci_u32 s28, s23, s25
	s_mov_b64 s[22:23], 0xffffffff
	v_mul_u64_e32 v[20:21], s[28:29], v[16:17]
	s_and_b64 s[22:23], s[2:3], s[22:23]
	v_mul_u64_e32 v[22:23], s[28:29], v[18:19]
	v_mul_u64_e32 v[12:13], s[22:23], v[18:19]
	s_delay_alu instid0(VALU_DEP_3) | instskip(NEXT) | instid1(VALU_DEP_1)
	v_add_nc_u64_e32 v[20:21], v[24:25], v[20:21]
	v_add_co_u32 v9, vcc_lo, v20, v12
	s_delay_alu instid0(VALU_DEP_2) | instskip(SKIP_1) | instid1(VALU_DEP_1)
	v_add_co_ci_u32_e32 v14, vcc_lo, v21, v13, vcc_lo
	v_add_co_ci_u32_e32 v23, vcc_lo, 0, v23, vcc_lo
	v_add_nc_u64_e32 v[12:13], v[14:15], v[22:23]
	s_delay_alu instid0(VALU_DEP_1) | instskip(NEXT) | instid1(VALU_DEP_1)
	v_mul_u64_e32 v[14:15], s[20:21], v[12:13]
	v_sub_nc_u32_e32 v9, v18, v15
	s_delay_alu instid0(VALU_DEP_2) | instskip(NEXT) | instid1(VALU_DEP_1)
	v_sub_co_u32 v14, vcc_lo, v16, v14
	v_sub_co_ci_u32_e64 v18, null, v18, v15, vcc_lo
	s_delay_alu instid0(VALU_DEP_3) | instskip(NEXT) | instid1(VALU_DEP_3)
	v_subrev_co_ci_u32_e64 v9, null, s21, v9, vcc_lo
	v_sub_co_u32 v16, s2, v14, s20
	s_delay_alu instid0(VALU_DEP_1) | instskip(NEXT) | instid1(VALU_DEP_2)
	v_subrev_co_ci_u32_e64 v9, null, 0, v9, s2
	v_cmp_le_u32_e32 vcc_lo, s20, v16
	v_cndmask_b32_e64 v15, 0, -1, vcc_lo
	s_delay_alu instid0(VALU_DEP_3)
	v_cmp_le_u32_e32 vcc_lo, s21, v9
	v_cndmask_b32_e64 v16, 0, -1, vcc_lo
	v_cmp_le_u32_e32 vcc_lo, s20, v14
	v_cndmask_b32_e64 v19, 0, -1, vcc_lo
	;; [unrolled: 2-line block ×3, first 2 shown]
	v_cmp_eq_u32_e32 vcc_lo, s21, v9
	v_cndmask_b32_e32 v9, v16, v15, vcc_lo
	v_cmp_eq_u32_e32 vcc_lo, s21, v18
	v_add_nc_u64_e32 v[14:15], 2, v[12:13]
	v_add_nc_u64_e32 v[16:17], 1, v[12:13]
	v_cndmask_b32_e32 v18, v20, v19, vcc_lo
	v_cmp_ne_u32_e32 vcc_lo, 0, v9
	s_delay_alu instid0(VALU_DEP_2) | instskip(NEXT) | instid1(VALU_DEP_4)
	v_cmp_ne_u32_e64 s2, 0, v18
	v_dual_cndmask_b32 v14, v16, v14 :: v_dual_cndmask_b32 v9, v17, v15
	s_delay_alu instid0(VALU_DEP_1) | instskip(SKIP_1) | instid1(VALU_DEP_2)
	v_dual_cndmask_b32 v12, v12, v14, s2 :: v_dual_cndmask_b32 v13, v13, v9, s2
	v_mov_b32_e32 v9, v8
	v_xor_b32_e32 v12, v12, v8
	s_delay_alu instid0(VALU_DEP_3) | instskip(NEXT) | instid1(VALU_DEP_1)
	v_xor_b32_e32 v13, v13, v8
	v_sub_nc_u64_e32 v[12:13], v[12:13], v[8:9]
.LBB32_15:
	s_and_not1_saveexec_b32 s2, s3
	s_cbranch_execz .LBB32_17
; %bb.16:
	v_cvt_f32_u32_e32 v8, s12
	s_sub_co_i32 s3, 0, s12
	s_delay_alu instid0(VALU_DEP_1) | instskip(SKIP_1) | instid1(TRANS32_DEP_1)
	v_rcp_iflag_f32_e32 v8, v8
	v_nop
	v_mul_f32_e32 v8, 0x4f7ffffe, v8
	s_delay_alu instid0(VALU_DEP_1) | instskip(NEXT) | instid1(VALU_DEP_1)
	v_cvt_u32_f32_e32 v8, v8
	v_mul_lo_u32 v9, s3, v8
	s_delay_alu instid0(VALU_DEP_1) | instskip(NEXT) | instid1(VALU_DEP_1)
	v_mul_hi_u32 v9, v8, v9
	v_add_nc_u32_e32 v8, v8, v9
	s_delay_alu instid0(VALU_DEP_1) | instskip(NEXT) | instid1(VALU_DEP_1)
	v_mul_hi_u32 v8, v4, v8
	v_mul_lo_u32 v9, v8, s12
	s_delay_alu instid0(VALU_DEP_1) | instskip(NEXT) | instid1(VALU_DEP_1)
	v_sub_nc_u32_e32 v9, v4, v9
	v_subrev_nc_u32_e32 v13, s12, v9
	v_cmp_le_u32_e32 vcc_lo, s12, v9
	s_delay_alu instid0(VALU_DEP_2) | instskip(NEXT) | instid1(VALU_DEP_1)
	v_dual_cndmask_b32 v9, v9, v13 :: v_dual_add_nc_u32 v12, 1, v8
	v_dual_cndmask_b32 v8, v8, v12 :: v_dual_mov_b32 v13, 0
	s_delay_alu instid0(VALU_DEP_2) | instskip(NEXT) | instid1(VALU_DEP_2)
	v_cmp_le_u32_e32 vcc_lo, s12, v9
	v_add_nc_u32_e32 v12, 1, v8
	s_delay_alu instid0(VALU_DEP_1)
	v_cndmask_b32_e32 v12, v8, v12, vcc_lo
.LBB32_17:
	s_or_b32 exec_lo, exec_lo, s2
	s_delay_alu instid0(VALU_DEP_1) | instskip(SKIP_2) | instid1(VALU_DEP_2)
	v_mul_u64_e32 v[8:9], s[12:13], v[12:13]
	s_mov_b32 s2, exec_lo
	v_mov_b32_e32 v14, 0
	v_sub_nc_u64_e32 v[8:9], v[4:5], v[8:9]
                                        ; implicit-def: $vgpr4_vgpr5
	s_delay_alu instid0(VALU_DEP_1) | instskip(NEXT) | instid1(VALU_DEP_1)
	v_or_b32_e32 v15, s9, v9
	v_cmpx_ne_u64_e32 0, v[14:15]
	s_xor_b32 s3, exec_lo, s2
	s_cbranch_execz .LBB32_19
; %bb.18:
	s_ashr_i32 s12, s9, 31
	s_mov_b32 s27, 0
	s_mov_b32 s13, s12
	v_dual_mov_b32 v19, v14 :: v_dual_ashrrev_i32 v4, 31, v9
	s_add_nc_u64 s[14:15], s[8:9], s[12:13]
	v_mov_b32_e32 v21, v14
	s_xor_b64 s[14:15], s[14:15], s[12:13]
	s_delay_alu instid0(VALU_DEP_2)
	v_mov_b32_e32 v5, v4
	s_cvt_f32_u32 s2, s14
	s_cvt_f32_u32 s13, s15
	s_sub_nc_u64 s[22:23], 0, s[14:15]
	v_mov_b32_e32 v27, v14
	v_add_nc_u64_e32 v[16:17], v[8:9], v[4:5]
	s_fmamk_f32 s2, s13, 0x4f800000, s2
	v_mov_b32_e32 v15, v14
	s_delay_alu instid0(SALU_CYCLE_2) | instskip(NEXT) | instid1(VALU_DEP_2)
	v_s_rcp_f32 s2, s2
	v_xor_b32_e32 v18, v16, v4
	s_delay_alu instid0(VALU_DEP_3) | instskip(SKIP_1) | instid1(TRANS32_DEP_1)
	v_xor_b32_e32 v20, v17, v4
	v_xor_b32_e32 v4, s12, v4
	s_mul_f32 s2, s2, 0x5f7ffffc
	s_delay_alu instid0(SALU_CYCLE_3) | instskip(NEXT) | instid1(SALU_CYCLE_3)
	s_mul_f32 s13, s2, 0x2f800000
	s_trunc_f32 s13, s13
	s_delay_alu instid0(SALU_CYCLE_3) | instskip(SKIP_1) | instid1(SALU_CYCLE_2)
	s_fmamk_f32 s2, s13, 0xcf800000, s2
	s_cvt_u32_f32 s21, s13
	s_cvt_u32_f32 s20, s2
	s_delay_alu instid0(SALU_CYCLE_3) | instskip(NEXT) | instid1(SALU_CYCLE_1)
	s_mul_u64 s[24:25], s[22:23], s[20:21]
	s_mul_hi_u32 s29, s20, s25
	s_mul_i32 s28, s20, s25
	s_mul_hi_u32 s26, s20, s24
	s_mul_i32 s13, s21, s24
	s_add_nc_u64 s[28:29], s[26:27], s[28:29]
	s_mul_hi_u32 s2, s21, s24
	s_mul_hi_u32 s30, s21, s25
	s_add_co_u32 s13, s28, s13
	s_add_co_ci_u32 s26, s29, s2
	s_mul_i32 s24, s21, s25
	s_add_co_ci_u32 s25, s30, 0
	s_delay_alu instid0(SALU_CYCLE_1) | instskip(NEXT) | instid1(SALU_CYCLE_1)
	s_add_nc_u64 s[24:25], s[26:27], s[24:25]
	s_add_co_u32 s20, s20, s24
	s_cselect_b32 s2, -1, 0
	s_delay_alu instid0(SALU_CYCLE_1) | instskip(SKIP_1) | instid1(SALU_CYCLE_1)
	s_cmp_lg_u32 s2, 0
	s_add_co_ci_u32 s21, s21, s25
	s_mul_u64 s[22:23], s[22:23], s[20:21]
	s_delay_alu instid0(SALU_CYCLE_1)
	s_mul_hi_u32 s25, s20, s23
	s_mul_i32 s24, s20, s23
	s_mul_hi_u32 s26, s20, s22
	s_mul_i32 s13, s21, s22
	s_add_nc_u64 s[24:25], s[26:27], s[24:25]
	s_mul_hi_u32 s2, s21, s22
	s_mul_hi_u32 s28, s21, s23
	s_add_co_u32 s13, s24, s13
	s_add_co_ci_u32 s26, s25, s2
	s_mul_i32 s22, s21, s23
	s_add_co_ci_u32 s23, s28, 0
	s_delay_alu instid0(SALU_CYCLE_1) | instskip(NEXT) | instid1(SALU_CYCLE_1)
	s_add_nc_u64 s[22:23], s[26:27], s[22:23]
	s_add_co_u32 s2, s20, s22
	s_cselect_b32 s13, -1, 0
	v_mul_hi_u32 v26, v18, s2
	s_cmp_lg_u32 s13, 0
	s_add_co_ci_u32 s26, s21, s23
	s_mov_b64 s[20:21], 0xffffffff
	v_mul_u64_e32 v[22:23], s[26:27], v[18:19]
	s_and_b64 s[20:21], s[2:3], s[20:21]
	v_mul_u64_e32 v[24:25], s[26:27], v[20:21]
	v_mul_u64_e32 v[16:17], s[20:21], v[20:21]
	s_delay_alu instid0(VALU_DEP_3) | instskip(NEXT) | instid1(VALU_DEP_1)
	v_add_nc_u64_e32 v[22:23], v[26:27], v[22:23]
	v_add_co_u32 v5, vcc_lo, v22, v16
	s_delay_alu instid0(VALU_DEP_2) | instskip(SKIP_1) | instid1(VALU_DEP_1)
	v_add_co_ci_u32_e32 v14, vcc_lo, v23, v17, vcc_lo
	v_add_co_ci_u32_e32 v25, vcc_lo, 0, v25, vcc_lo
	v_add_nc_u64_e32 v[14:15], v[14:15], v[24:25]
	s_delay_alu instid0(VALU_DEP_1) | instskip(NEXT) | instid1(VALU_DEP_1)
	v_mul_u64_e32 v[16:17], s[14:15], v[14:15]
	v_sub_nc_u32_e32 v5, v20, v17
	s_delay_alu instid0(VALU_DEP_2) | instskip(NEXT) | instid1(VALU_DEP_1)
	v_sub_co_u32 v16, vcc_lo, v18, v16
	v_sub_co_ci_u32_e64 v20, null, v20, v17, vcc_lo
	s_delay_alu instid0(VALU_DEP_3) | instskip(NEXT) | instid1(VALU_DEP_3)
	v_subrev_co_ci_u32_e64 v5, null, s15, v5, vcc_lo
	v_sub_co_u32 v18, s2, v16, s14
	s_delay_alu instid0(VALU_DEP_1) | instskip(NEXT) | instid1(VALU_DEP_2)
	v_subrev_co_ci_u32_e64 v5, null, 0, v5, s2
	v_cmp_le_u32_e32 vcc_lo, s14, v18
	v_cndmask_b32_e64 v17, 0, -1, vcc_lo
	s_delay_alu instid0(VALU_DEP_3)
	v_cmp_le_u32_e32 vcc_lo, s15, v5
	v_cndmask_b32_e64 v18, 0, -1, vcc_lo
	v_cmp_le_u32_e32 vcc_lo, s14, v16
	v_cndmask_b32_e64 v21, 0, -1, vcc_lo
	;; [unrolled: 2-line block ×3, first 2 shown]
	v_cmp_eq_u32_e32 vcc_lo, s15, v5
	v_cndmask_b32_e32 v5, v18, v17, vcc_lo
	v_cmp_eq_u32_e32 vcc_lo, s15, v20
	v_add_nc_u64_e32 v[16:17], 2, v[14:15]
	v_add_nc_u64_e32 v[18:19], 1, v[14:15]
	v_cndmask_b32_e32 v20, v22, v21, vcc_lo
	v_cmp_ne_u32_e32 vcc_lo, 0, v5
	s_delay_alu instid0(VALU_DEP_2) | instskip(NEXT) | instid1(VALU_DEP_4)
	v_cmp_ne_u32_e64 s2, 0, v20
	v_dual_cndmask_b32 v16, v18, v16 :: v_dual_cndmask_b32 v5, v19, v17
	s_delay_alu instid0(VALU_DEP_1) | instskip(NEXT) | instid1(VALU_DEP_1)
	v_dual_cndmask_b32 v14, v14, v16, s2 :: v_dual_cndmask_b32 v15, v15, v5, s2
	v_dual_mov_b32 v5, v4 :: v_dual_bitop2_b32 v14, v14, v4 bitop3:0x14
	s_delay_alu instid0(VALU_DEP_2) | instskip(NEXT) | instid1(VALU_DEP_1)
	v_xor_b32_e32 v15, v15, v4
	v_sub_nc_u64_e32 v[4:5], v[14:15], v[4:5]
.LBB32_19:
	s_and_not1_saveexec_b32 s2, s3
	s_cbranch_execz .LBB32_21
; %bb.20:
	v_cvt_f32_u32_e32 v4, s8
	s_sub_co_i32 s3, 0, s8
	s_delay_alu instid0(VALU_DEP_1) | instskip(SKIP_1) | instid1(TRANS32_DEP_1)
	v_rcp_iflag_f32_e32 v4, v4
	v_nop
	v_mul_f32_e32 v4, 0x4f7ffffe, v4
	s_delay_alu instid0(VALU_DEP_1) | instskip(NEXT) | instid1(VALU_DEP_1)
	v_cvt_u32_f32_e32 v4, v4
	v_mul_lo_u32 v5, s3, v4
	s_delay_alu instid0(VALU_DEP_1) | instskip(NEXT) | instid1(VALU_DEP_1)
	v_mul_hi_u32 v5, v4, v5
	v_add_nc_u32_e32 v4, v4, v5
	s_delay_alu instid0(VALU_DEP_1) | instskip(NEXT) | instid1(VALU_DEP_1)
	v_mul_hi_u32 v4, v8, v4
	v_mul_lo_u32 v5, v4, s8
	s_delay_alu instid0(VALU_DEP_1) | instskip(NEXT) | instid1(VALU_DEP_1)
	v_dual_add_nc_u32 v14, 1, v4 :: v_dual_sub_nc_u32 v5, v8, v5
	v_subrev_nc_u32_e32 v15, s8, v5
	v_cmp_le_u32_e32 vcc_lo, s8, v5
	s_delay_alu instid0(VALU_DEP_2) | instskip(NEXT) | instid1(VALU_DEP_1)
	v_dual_cndmask_b32 v5, v5, v15 :: v_dual_cndmask_b32 v4, v4, v14
	v_cmp_le_u32_e32 vcc_lo, s8, v5
	s_delay_alu instid0(VALU_DEP_2) | instskip(NEXT) | instid1(VALU_DEP_1)
	v_dual_mov_b32 v5, 0 :: v_dual_add_nc_u32 v14, 1, v4
	v_cndmask_b32_e32 v4, v4, v14, vcc_lo
.LBB32_21:
	s_or_b32 exec_lo, exec_lo, s2
	s_delay_alu instid0(VALU_DEP_1) | instskip(SKIP_1) | instid1(VALU_DEP_1)
	v_mul_u64_e32 v[14:15], s[8:9], v[4:5]
                                        ; implicit-def: $vgpr16_vgpr17
	s_mov_b32 s2, exec_lo
	v_sub_nc_u64_e32 v[8:9], v[8:9], v[14:15]
	s_delay_alu instid0(VALU_DEP_1) | instskip(NEXT) | instid1(VALU_DEP_1)
	v_dual_mov_b32 v14, 0 :: v_dual_bitop2_b32 v15, s41, v9 bitop3:0x54
	v_cmpx_ne_u64_e32 0, v[14:15]
	s_xor_b32 s3, exec_lo, s2
	s_cbranch_execz .LBB32_23
; %bb.22:
	s_ashr_i32 s8, s41, 31
	s_mov_b32 s25, 0
	s_mov_b32 s9, s8
	v_dual_mov_b32 v21, v14 :: v_dual_ashrrev_i32 v16, 31, v9
	s_add_nc_u64 s[12:13], s[40:41], s[8:9]
	v_dual_mov_b32 v29, v14 :: v_dual_mov_b32 v15, v14
	s_xor_b64 s[12:13], s[12:13], s[8:9]
	s_delay_alu instid0(VALU_DEP_2) | instskip(SKIP_3) | instid1(VALU_DEP_1)
	v_mov_b32_e32 v17, v16
	s_cvt_f32_u32 s2, s12
	s_cvt_f32_u32 s9, s13
	s_sub_nc_u64 s[20:21], 0, s[12:13]
	v_add_nc_u64_e32 v[18:19], v[8:9], v[16:17]
	s_delay_alu instid0(SALU_CYCLE_1) | instskip(SKIP_1) | instid1(SALU_CYCLE_2)
	s_fmamk_f32 s2, s9, 0x4f800000, s2
	v_mov_b32_e32 v23, v14
	v_s_rcp_f32 s2, s2
	s_delay_alu instid0(VALU_DEP_2) | instskip(NEXT) | instid1(VALU_DEP_3)
	v_xor_b32_e32 v20, v18, v16
	v_xor_b32_e32 v22, v19, v16
	;; [unrolled: 1-line block ×3, first 2 shown]
	s_delay_alu instid0(TRANS32_DEP_1) | instskip(NEXT) | instid1(SALU_CYCLE_3)
	s_mul_f32 s2, s2, 0x5f7ffffc
	s_mul_f32 s9, s2, 0x2f800000
	s_delay_alu instid0(SALU_CYCLE_3) | instskip(NEXT) | instid1(SALU_CYCLE_3)
	s_trunc_f32 s9, s9
	s_fmamk_f32 s2, s9, 0xcf800000, s2
	s_cvt_u32_f32 s15, s9
	s_delay_alu instid0(SALU_CYCLE_2) | instskip(NEXT) | instid1(SALU_CYCLE_3)
	s_cvt_u32_f32 s14, s2
	s_mul_u64 s[22:23], s[20:21], s[14:15]
	s_delay_alu instid0(SALU_CYCLE_1)
	s_mul_hi_u32 s27, s14, s23
	s_mul_i32 s26, s14, s23
	s_mul_hi_u32 s24, s14, s22
	s_mul_i32 s9, s15, s22
	s_add_nc_u64 s[26:27], s[24:25], s[26:27]
	s_mul_hi_u32 s2, s15, s22
	s_mul_hi_u32 s28, s15, s23
	s_add_co_u32 s9, s26, s9
	s_add_co_ci_u32 s24, s27, s2
	s_mul_i32 s22, s15, s23
	s_add_co_ci_u32 s23, s28, 0
	s_delay_alu instid0(SALU_CYCLE_1) | instskip(NEXT) | instid1(SALU_CYCLE_1)
	s_add_nc_u64 s[22:23], s[24:25], s[22:23]
	s_add_co_u32 s14, s14, s22
	s_cselect_b32 s2, -1, 0
	s_delay_alu instid0(SALU_CYCLE_1) | instskip(SKIP_1) | instid1(SALU_CYCLE_1)
	s_cmp_lg_u32 s2, 0
	s_add_co_ci_u32 s15, s15, s23
	s_mul_u64 s[20:21], s[20:21], s[14:15]
	s_delay_alu instid0(SALU_CYCLE_1)
	s_mul_hi_u32 s23, s14, s21
	s_mul_i32 s22, s14, s21
	s_mul_hi_u32 s24, s14, s20
	s_mul_i32 s9, s15, s20
	s_add_nc_u64 s[22:23], s[24:25], s[22:23]
	s_mul_hi_u32 s2, s15, s20
	s_mul_hi_u32 s26, s15, s21
	s_add_co_u32 s9, s22, s9
	s_add_co_ci_u32 s24, s23, s2
	s_mul_i32 s20, s15, s21
	s_add_co_ci_u32 s21, s26, 0
	s_delay_alu instid0(SALU_CYCLE_1) | instskip(NEXT) | instid1(SALU_CYCLE_1)
	s_add_nc_u64 s[20:21], s[24:25], s[20:21]
	s_add_co_u32 s2, s14, s20
	s_cselect_b32 s9, -1, 0
	v_mul_hi_u32 v28, v20, s2
	s_cmp_lg_u32 s9, 0
	s_add_co_ci_u32 s24, s15, s21
	s_mov_b64 s[14:15], 0xffffffff
	v_mul_u64_e32 v[24:25], s[24:25], v[20:21]
	s_and_b64 s[14:15], s[2:3], s[14:15]
	v_mul_u64_e32 v[26:27], s[24:25], v[22:23]
	v_mul_u64_e32 v[18:19], s[14:15], v[22:23]
	s_delay_alu instid0(VALU_DEP_3) | instskip(NEXT) | instid1(VALU_DEP_1)
	v_add_nc_u64_e32 v[24:25], v[28:29], v[24:25]
	v_add_co_u32 v14, vcc_lo, v24, v18
	s_delay_alu instid0(VALU_DEP_2) | instskip(SKIP_1) | instid1(VALU_DEP_1)
	v_add_co_ci_u32_e32 v14, vcc_lo, v25, v19, vcc_lo
	v_add_co_ci_u32_e32 v27, vcc_lo, 0, v27, vcc_lo
	v_add_nc_u64_e32 v[14:15], v[14:15], v[26:27]
	s_delay_alu instid0(VALU_DEP_1) | instskip(NEXT) | instid1(VALU_DEP_1)
	v_mul_u64_e32 v[18:19], s[12:13], v[14:15]
	v_sub_nc_u32_e32 v17, v22, v19
	s_delay_alu instid0(VALU_DEP_2) | instskip(NEXT) | instid1(VALU_DEP_1)
	v_sub_co_u32 v18, vcc_lo, v20, v18
	v_sub_co_ci_u32_e64 v22, null, v22, v19, vcc_lo
	s_delay_alu instid0(VALU_DEP_3) | instskip(NEXT) | instid1(VALU_DEP_3)
	v_subrev_co_ci_u32_e64 v17, null, s13, v17, vcc_lo
	v_sub_co_u32 v20, s2, v18, s12
	s_delay_alu instid0(VALU_DEP_1) | instskip(NEXT) | instid1(VALU_DEP_2)
	v_subrev_co_ci_u32_e64 v17, null, 0, v17, s2
	v_cmp_le_u32_e32 vcc_lo, s12, v20
	v_cndmask_b32_e64 v19, 0, -1, vcc_lo
	s_delay_alu instid0(VALU_DEP_3)
	v_cmp_le_u32_e32 vcc_lo, s13, v17
	v_cndmask_b32_e64 v20, 0, -1, vcc_lo
	v_cmp_le_u32_e32 vcc_lo, s12, v18
	v_cndmask_b32_e64 v23, 0, -1, vcc_lo
	;; [unrolled: 2-line block ×3, first 2 shown]
	v_cmp_eq_u32_e32 vcc_lo, s13, v17
	v_cndmask_b32_e32 v17, v20, v19, vcc_lo
	v_cmp_eq_u32_e32 vcc_lo, s13, v22
	v_add_nc_u64_e32 v[18:19], 2, v[14:15]
	v_add_nc_u64_e32 v[20:21], 1, v[14:15]
	v_cndmask_b32_e32 v22, v24, v23, vcc_lo
	v_cmp_ne_u32_e32 vcc_lo, 0, v17
	s_delay_alu instid0(VALU_DEP_2) | instskip(NEXT) | instid1(VALU_DEP_4)
	v_cmp_ne_u32_e64 s2, 0, v22
	v_dual_cndmask_b32 v18, v20, v18 :: v_dual_cndmask_b32 v17, v21, v19
	s_delay_alu instid0(VALU_DEP_1) | instskip(NEXT) | instid1(VALU_DEP_1)
	v_dual_cndmask_b32 v14, v14, v18, s2 :: v_dual_cndmask_b32 v15, v15, v17, s2
	v_dual_mov_b32 v17, v16 :: v_dual_bitop2_b32 v14, v14, v16 bitop3:0x14
	s_delay_alu instid0(VALU_DEP_2) | instskip(NEXT) | instid1(VALU_DEP_1)
	v_xor_b32_e32 v15, v15, v16
	v_sub_nc_u64_e32 v[16:17], v[14:15], v[16:17]
.LBB32_23:
	s_and_not1_saveexec_b32 s2, s3
	s_cbranch_execz .LBB32_25
; %bb.24:
	v_cvt_f32_u32_e32 v14, s40
	s_sub_co_i32 s3, 0, s40
	s_delay_alu instid0(VALU_DEP_1) | instskip(SKIP_1) | instid1(TRANS32_DEP_1)
	v_rcp_iflag_f32_e32 v14, v14
	v_nop
	v_mul_f32_e32 v14, 0x4f7ffffe, v14
	s_delay_alu instid0(VALU_DEP_1) | instskip(NEXT) | instid1(VALU_DEP_1)
	v_cvt_u32_f32_e32 v14, v14
	v_mul_lo_u32 v15, s3, v14
	s_delay_alu instid0(VALU_DEP_1) | instskip(NEXT) | instid1(VALU_DEP_1)
	v_mul_hi_u32 v15, v14, v15
	v_add_nc_u32_e32 v14, v14, v15
	s_delay_alu instid0(VALU_DEP_1) | instskip(NEXT) | instid1(VALU_DEP_1)
	v_mul_hi_u32 v14, v8, v14
	v_mul_lo_u32 v15, v14, s40
	s_delay_alu instid0(VALU_DEP_1) | instskip(NEXT) | instid1(VALU_DEP_1)
	v_dual_add_nc_u32 v16, 1, v14 :: v_dual_sub_nc_u32 v15, v8, v15
	v_subrev_nc_u32_e32 v17, s40, v15
	v_cmp_le_u32_e32 vcc_lo, s40, v15
	s_delay_alu instid0(VALU_DEP_2) | instskip(NEXT) | instid1(VALU_DEP_4)
	v_dual_cndmask_b32 v15, v15, v17, vcc_lo :: v_dual_mov_b32 v17, 0
	v_cndmask_b32_e32 v14, v14, v16, vcc_lo
	s_delay_alu instid0(VALU_DEP_2) | instskip(NEXT) | instid1(VALU_DEP_2)
	v_cmp_le_u32_e32 vcc_lo, s40, v15
	v_add_nc_u32_e32 v16, 1, v14
	s_delay_alu instid0(VALU_DEP_1)
	v_cndmask_b32_e32 v16, v14, v16, vcc_lo
.LBB32_25:
	s_or_b32 exec_lo, exec_lo, s2
	v_mul_u64_e32 v[14:15], s[10:11], v[10:11]
	s_load_b64 s[0:1], s[0:1], 0x80
	s_delay_alu instid0(VALU_DEP_1) | instskip(NEXT) | instid1(VALU_DEP_1)
	v_sub_nc_u64_e32 v[6:7], v[6:7], v[14:15]
	v_mad_nc_u64_u32 v[14:15], v6, s16, s[4:5]
	s_delay_alu instid0(VALU_DEP_1) | instskip(NEXT) | instid1(VALU_DEP_1)
	v_mad_u32 v7, v7, s16, v15
	v_mad_u32 v15, v6, s17, v7
	s_delay_alu instid0(VALU_DEP_1) | instskip(NEXT) | instid1(VALU_DEP_1)
	v_mad_nc_u64_u32 v[6:7], v10, s18, v[14:15]
	v_mad_u32 v7, v11, s18, v7
	s_delay_alu instid0(VALU_DEP_1) | instskip(NEXT) | instid1(VALU_DEP_1)
	v_mad_u32 v7, v10, s19, v7
	v_mad_nc_u64_u32 v[6:7], v2, s36, v[6:7]
	s_delay_alu instid0(VALU_DEP_1) | instskip(NEXT) | instid1(VALU_DEP_1)
	v_mad_u32 v3, v3, s36, v7
	v_mad_u32 v7, v2, s37, v3
	s_delay_alu instid0(VALU_DEP_1) | instskip(NEXT) | instid1(VALU_DEP_1)
	v_mad_nc_u64_u32 v[2:3], v0, s38, v[6:7]
	v_mad_u32 v1, v1, s38, v3
	s_delay_alu instid0(VALU_DEP_1) | instskip(SKIP_4) | instid1(VALU_DEP_1)
	v_mad_u32 v3, v0, s39, v1
	v_mul_u64_e32 v[0:1], s[40:41], v[16:17]
	global_load_b32 v6, v[2:3], off
	v_sub_nc_u64_e32 v[0:1], v[8:9], v[0:1]
	s_wait_xcnt 0x0
	v_mad_nc_u64_u32 v[2:3], v0, s46, s[6:7]
	s_delay_alu instid0(VALU_DEP_1) | instskip(NEXT) | instid1(VALU_DEP_1)
	v_mad_u32 v1, v1, s46, v3
	v_mad_u32 v3, v0, s47, v1
	s_delay_alu instid0(VALU_DEP_1) | instskip(NEXT) | instid1(VALU_DEP_1)
	v_mad_nc_u64_u32 v[0:1], v16, s48, v[2:3]
	v_mad_u32 v1, v17, s48, v1
	s_delay_alu instid0(VALU_DEP_1) | instskip(NEXT) | instid1(VALU_DEP_1)
	v_mad_u32 v1, v16, s49, v1
	v_mad_nc_u64_u32 v[0:1], v4, s50, v[0:1]
	s_delay_alu instid0(VALU_DEP_1) | instskip(NEXT) | instid1(VALU_DEP_1)
	v_mad_u32 v1, v5, s50, v1
	v_mad_u32 v1, v4, s51, v1
	s_wait_kmcnt 0x0
	s_delay_alu instid0(VALU_DEP_1) | instskip(NEXT) | instid1(VALU_DEP_1)
	v_mad_nc_u64_u32 v[0:1], v12, s0, v[0:1]
	v_mad_u32 v1, v13, s0, v1
	s_delay_alu instid0(VALU_DEP_1)
	v_mad_u32 v1, v12, s1, v1
	s_wait_loadcnt 0x0
	v_cvt_i32_f32_e32 v2, v6
	global_store_b32 v[0:1], v2, off
.LBB32_26:
	s_endpgm
	.section	.rodata,"a",@progbits
	.p2align	6, 0x0
	.amdhsa_kernel _ZL10cpy_scalarIXadL_ZL12cpy_1_scalarIfiEvPKcPcEEEvS2_S3_lllllllllllllll
		.amdhsa_group_segment_fixed_size 0
		.amdhsa_private_segment_fixed_size 0
		.amdhsa_kernarg_size 392
		.amdhsa_user_sgpr_count 2
		.amdhsa_user_sgpr_dispatch_ptr 0
		.amdhsa_user_sgpr_queue_ptr 0
		.amdhsa_user_sgpr_kernarg_segment_ptr 1
		.amdhsa_user_sgpr_dispatch_id 0
		.amdhsa_user_sgpr_kernarg_preload_length 0
		.amdhsa_user_sgpr_kernarg_preload_offset 0
		.amdhsa_user_sgpr_private_segment_size 0
		.amdhsa_wavefront_size32 1
		.amdhsa_uses_dynamic_stack 0
		.amdhsa_enable_private_segment 0
		.amdhsa_system_sgpr_workgroup_id_x 1
		.amdhsa_system_sgpr_workgroup_id_y 0
		.amdhsa_system_sgpr_workgroup_id_z 0
		.amdhsa_system_sgpr_workgroup_info 0
		.amdhsa_system_vgpr_workitem_id 0
		.amdhsa_next_free_vgpr 30
		.amdhsa_next_free_sgpr 52
		.amdhsa_named_barrier_count 0
		.amdhsa_reserve_vcc 1
		.amdhsa_float_round_mode_32 0
		.amdhsa_float_round_mode_16_64 0
		.amdhsa_float_denorm_mode_32 3
		.amdhsa_float_denorm_mode_16_64 3
		.amdhsa_fp16_overflow 0
		.amdhsa_memory_ordered 1
		.amdhsa_forward_progress 1
		.amdhsa_inst_pref_size 40
		.amdhsa_round_robin_scheduling 0
		.amdhsa_exception_fp_ieee_invalid_op 0
		.amdhsa_exception_fp_denorm_src 0
		.amdhsa_exception_fp_ieee_div_zero 0
		.amdhsa_exception_fp_ieee_overflow 0
		.amdhsa_exception_fp_ieee_underflow 0
		.amdhsa_exception_fp_ieee_inexact 0
		.amdhsa_exception_int_div_zero 0
	.end_amdhsa_kernel
	.section	.text._ZL10cpy_scalarIXadL_ZL12cpy_1_scalarIfiEvPKcPcEEEvS2_S3_lllllllllllllll,"axG",@progbits,_ZL10cpy_scalarIXadL_ZL12cpy_1_scalarIfiEvPKcPcEEEvS2_S3_lllllllllllllll,comdat
.Lfunc_end32:
	.size	_ZL10cpy_scalarIXadL_ZL12cpy_1_scalarIfiEvPKcPcEEEvS2_S3_lllllllllllllll, .Lfunc_end32-_ZL10cpy_scalarIXadL_ZL12cpy_1_scalarIfiEvPKcPcEEEvS2_S3_lllllllllllllll
                                        ; -- End function
	.set _ZL10cpy_scalarIXadL_ZL12cpy_1_scalarIfiEvPKcPcEEEvS2_S3_lllllllllllllll.num_vgpr, 30
	.set _ZL10cpy_scalarIXadL_ZL12cpy_1_scalarIfiEvPKcPcEEEvS2_S3_lllllllllllllll.num_agpr, 0
	.set _ZL10cpy_scalarIXadL_ZL12cpy_1_scalarIfiEvPKcPcEEEvS2_S3_lllllllllllllll.numbered_sgpr, 52
	.set _ZL10cpy_scalarIXadL_ZL12cpy_1_scalarIfiEvPKcPcEEEvS2_S3_lllllllllllllll.num_named_barrier, 0
	.set _ZL10cpy_scalarIXadL_ZL12cpy_1_scalarIfiEvPKcPcEEEvS2_S3_lllllllllllllll.private_seg_size, 0
	.set _ZL10cpy_scalarIXadL_ZL12cpy_1_scalarIfiEvPKcPcEEEvS2_S3_lllllllllllllll.uses_vcc, 1
	.set _ZL10cpy_scalarIXadL_ZL12cpy_1_scalarIfiEvPKcPcEEEvS2_S3_lllllllllllllll.uses_flat_scratch, 0
	.set _ZL10cpy_scalarIXadL_ZL12cpy_1_scalarIfiEvPKcPcEEEvS2_S3_lllllllllllllll.has_dyn_sized_stack, 0
	.set _ZL10cpy_scalarIXadL_ZL12cpy_1_scalarIfiEvPKcPcEEEvS2_S3_lllllllllllllll.has_recursion, 0
	.set _ZL10cpy_scalarIXadL_ZL12cpy_1_scalarIfiEvPKcPcEEEvS2_S3_lllllllllllllll.has_indirect_call, 0
	.section	.AMDGPU.csdata,"",@progbits
; Kernel info:
; codeLenInByte = 5008
; TotalNumSgprs: 54
; NumVgprs: 30
; ScratchSize: 0
; MemoryBound: 0
; FloatMode: 240
; IeeeMode: 1
; LDSByteSize: 0 bytes/workgroup (compile time only)
; SGPRBlocks: 0
; VGPRBlocks: 1
; NumSGPRsForWavesPerEU: 54
; NumVGPRsForWavesPerEU: 30
; NamedBarCnt: 0
; Occupancy: 16
; WaveLimiterHint : 0
; COMPUTE_PGM_RSRC2:SCRATCH_EN: 0
; COMPUTE_PGM_RSRC2:USER_SGPR: 2
; COMPUTE_PGM_RSRC2:TRAP_HANDLER: 0
; COMPUTE_PGM_RSRC2:TGID_X_EN: 1
; COMPUTE_PGM_RSRC2:TGID_Y_EN: 0
; COMPUTE_PGM_RSRC2:TGID_Z_EN: 0
; COMPUTE_PGM_RSRC2:TIDIG_COMP_CNT: 0
	.section	.text._ZL21cpy_scalar_contiguousIifEvPKcPcl,"axG",@progbits,_ZL21cpy_scalar_contiguousIifEvPKcPcl,comdat
	.globl	_ZL21cpy_scalar_contiguousIifEvPKcPcl ; -- Begin function _ZL21cpy_scalar_contiguousIifEvPKcPcl
	.p2align	8
	.type	_ZL21cpy_scalar_contiguousIifEvPKcPcl,@function
_ZL21cpy_scalar_contiguousIifEvPKcPcl:  ; @_ZL21cpy_scalar_contiguousIifEvPKcPcl
; %bb.0:
	s_clause 0x1
	s_load_b32 s4, s[0:1], 0x24
	s_load_b64 s[2:3], s[0:1], 0x10
	s_bfe_u32 s5, ttmp6, 0x4000c
	s_and_b32 s6, ttmp6, 15
	s_add_co_i32 s5, s5, 1
	s_getreg_b32 s7, hwreg(HW_REG_IB_STS2, 6, 4)
	s_mul_i32 s5, ttmp9, s5
	v_mov_b32_e32 v1, 0
	s_add_co_i32 s6, s6, s5
	s_wait_kmcnt 0x0
	s_and_b32 s4, s4, 0xffff
	s_cmp_eq_u32 s7, 0
	s_cselect_b32 s5, ttmp9, s6
	s_delay_alu instid0(SALU_CYCLE_1) | instskip(NEXT) | instid1(VALU_DEP_1)
	v_mad_nc_u64_u32 v[0:1], s4, s5, v[0:1]
	v_cmp_gt_i64_e32 vcc_lo, s[2:3], v[0:1]
	s_and_saveexec_b32 s2, vcc_lo
	s_cbranch_execz .LBB33_2
; %bb.1:
	s_load_b128 s[0:3], s[0:1], 0x0
	v_lshlrev_b64_e32 v[0:1], 2, v[0:1]
	s_wait_kmcnt 0x0
	s_delay_alu instid0(VALU_DEP_1)
	v_add_nc_u64_e32 v[2:3], s[0:1], v[0:1]
	v_add_nc_u64_e32 v[0:1], s[2:3], v[0:1]
	global_load_b32 v2, v[2:3], off
	s_wait_loadcnt 0x0
	v_cvt_f32_i32_e32 v2, v2
	global_store_b32 v[0:1], v2, off
.LBB33_2:
	s_endpgm
	.section	.rodata,"a",@progbits
	.p2align	6, 0x0
	.amdhsa_kernel _ZL21cpy_scalar_contiguousIifEvPKcPcl
		.amdhsa_group_segment_fixed_size 0
		.amdhsa_private_segment_fixed_size 0
		.amdhsa_kernarg_size 280
		.amdhsa_user_sgpr_count 2
		.amdhsa_user_sgpr_dispatch_ptr 0
		.amdhsa_user_sgpr_queue_ptr 0
		.amdhsa_user_sgpr_kernarg_segment_ptr 1
		.amdhsa_user_sgpr_dispatch_id 0
		.amdhsa_user_sgpr_kernarg_preload_length 0
		.amdhsa_user_sgpr_kernarg_preload_offset 0
		.amdhsa_user_sgpr_private_segment_size 0
		.amdhsa_wavefront_size32 1
		.amdhsa_uses_dynamic_stack 0
		.amdhsa_enable_private_segment 0
		.amdhsa_system_sgpr_workgroup_id_x 1
		.amdhsa_system_sgpr_workgroup_id_y 0
		.amdhsa_system_sgpr_workgroup_id_z 0
		.amdhsa_system_sgpr_workgroup_info 0
		.amdhsa_system_vgpr_workitem_id 0
		.amdhsa_next_free_vgpr 4
		.amdhsa_next_free_sgpr 8
		.amdhsa_named_barrier_count 0
		.amdhsa_reserve_vcc 1
		.amdhsa_float_round_mode_32 0
		.amdhsa_float_round_mode_16_64 0
		.amdhsa_float_denorm_mode_32 3
		.amdhsa_float_denorm_mode_16_64 3
		.amdhsa_fp16_overflow 0
		.amdhsa_memory_ordered 1
		.amdhsa_forward_progress 1
		.amdhsa_inst_pref_size 2
		.amdhsa_round_robin_scheduling 0
		.amdhsa_exception_fp_ieee_invalid_op 0
		.amdhsa_exception_fp_denorm_src 0
		.amdhsa_exception_fp_ieee_div_zero 0
		.amdhsa_exception_fp_ieee_overflow 0
		.amdhsa_exception_fp_ieee_underflow 0
		.amdhsa_exception_fp_ieee_inexact 0
		.amdhsa_exception_int_div_zero 0
	.end_amdhsa_kernel
	.section	.text._ZL21cpy_scalar_contiguousIifEvPKcPcl,"axG",@progbits,_ZL21cpy_scalar_contiguousIifEvPKcPcl,comdat
.Lfunc_end33:
	.size	_ZL21cpy_scalar_contiguousIifEvPKcPcl, .Lfunc_end33-_ZL21cpy_scalar_contiguousIifEvPKcPcl
                                        ; -- End function
	.set _ZL21cpy_scalar_contiguousIifEvPKcPcl.num_vgpr, 4
	.set _ZL21cpy_scalar_contiguousIifEvPKcPcl.num_agpr, 0
	.set _ZL21cpy_scalar_contiguousIifEvPKcPcl.numbered_sgpr, 8
	.set _ZL21cpy_scalar_contiguousIifEvPKcPcl.num_named_barrier, 0
	.set _ZL21cpy_scalar_contiguousIifEvPKcPcl.private_seg_size, 0
	.set _ZL21cpy_scalar_contiguousIifEvPKcPcl.uses_vcc, 1
	.set _ZL21cpy_scalar_contiguousIifEvPKcPcl.uses_flat_scratch, 0
	.set _ZL21cpy_scalar_contiguousIifEvPKcPcl.has_dyn_sized_stack, 0
	.set _ZL21cpy_scalar_contiguousIifEvPKcPcl.has_recursion, 0
	.set _ZL21cpy_scalar_contiguousIifEvPKcPcl.has_indirect_call, 0
	.section	.AMDGPU.csdata,"",@progbits
; Kernel info:
; codeLenInByte = 160
; TotalNumSgprs: 10
; NumVgprs: 4
; ScratchSize: 0
; MemoryBound: 0
; FloatMode: 240
; IeeeMode: 1
; LDSByteSize: 0 bytes/workgroup (compile time only)
; SGPRBlocks: 0
; VGPRBlocks: 0
; NumSGPRsForWavesPerEU: 10
; NumVGPRsForWavesPerEU: 4
; NamedBarCnt: 0
; Occupancy: 16
; WaveLimiterHint : 0
; COMPUTE_PGM_RSRC2:SCRATCH_EN: 0
; COMPUTE_PGM_RSRC2:USER_SGPR: 2
; COMPUTE_PGM_RSRC2:TRAP_HANDLER: 0
; COMPUTE_PGM_RSRC2:TGID_X_EN: 1
; COMPUTE_PGM_RSRC2:TGID_Y_EN: 0
; COMPUTE_PGM_RSRC2:TGID_Z_EN: 0
; COMPUTE_PGM_RSRC2:TIDIG_COMP_CNT: 0
	.section	.text._ZL10cpy_scalarIXadL_ZL12cpy_1_scalarIifEvPKcPcEEEvS2_S3_lllllllllllllll,"axG",@progbits,_ZL10cpy_scalarIXadL_ZL12cpy_1_scalarIifEvPKcPcEEEvS2_S3_lllllllllllllll,comdat
	.globl	_ZL10cpy_scalarIXadL_ZL12cpy_1_scalarIifEvPKcPcEEEvS2_S3_lllllllllllllll ; -- Begin function _ZL10cpy_scalarIXadL_ZL12cpy_1_scalarIifEvPKcPcEEEvS2_S3_lllllllllllllll
	.p2align	8
	.type	_ZL10cpy_scalarIXadL_ZL12cpy_1_scalarIifEvPKcPcEEEvS2_S3_lllllllllllllll,@function
_ZL10cpy_scalarIXadL_ZL12cpy_1_scalarIifEvPKcPcEEEvS2_S3_lllllllllllllll: ; @_ZL10cpy_scalarIXadL_ZL12cpy_1_scalarIifEvPKcPcEEEvS2_S3_lllllllllllllll
; %bb.0:
	s_load_b32 s2, s[0:1], 0x94
	s_bfe_u32 s4, ttmp6, 0x4000c
	v_mov_b32_e32 v2, 0
	s_add_co_i32 s21, s4, 1
	s_load_b512 s[4:19], s[0:1], 0x0
	s_and_b32 s3, ttmp6, 15
	s_mul_i32 s21, ttmp9, s21
	s_getreg_b32 s20, hwreg(HW_REG_IB_STS2, 6, 4)
	v_mov_b32_e32 v1, v2
	s_add_co_i32 s3, s3, s21
	s_wait_kmcnt 0x0
	s_and_b32 s2, s2, 0xffff
	s_cmp_eq_u32 s20, 0
	s_cselect_b32 s3, ttmp9, s3
	s_delay_alu instid0(SALU_CYCLE_1) | instskip(SKIP_1) | instid1(VALU_DEP_1)
	v_mad_nc_u64_u32 v[4:5], s2, s3, v[0:1]
	s_mov_b32 s2, exec_lo
	v_cmpx_gt_i64_e64 s[8:9], v[4:5]
	s_cbranch_execz .LBB34_26
; %bb.1:
	s_mul_u64 s[8:9], s[12:13], s[10:11]
                                        ; implicit-def: $vgpr0_vgpr1
	s_mov_b32 s2, exec_lo
	s_mul_u64 s[12:13], s[8:9], s[14:15]
	s_delay_alu instid0(SALU_CYCLE_1) | instskip(NEXT) | instid1(VALU_DEP_1)
	v_dual_ashrrev_i32 v8, 31, v5 :: v_dual_bitop2_b32 v3, s13, v5 bitop3:0x54
	v_cmpx_ne_u64_e32 0, v[2:3]
	s_xor_b32 s3, exec_lo, s2
	s_cbranch_execz .LBB34_3
; %bb.2:
	s_ashr_i32 s14, s13, 31
	s_mov_b32 s29, 0
	s_mov_b32 s15, s14
	v_dual_mov_b32 v9, v8 :: v_dual_mov_b32 v3, 0
	s_add_nc_u64 s[20:21], s[12:13], s[14:15]
	s_delay_alu instid0(SALU_CYCLE_1) | instskip(NEXT) | instid1(VALU_DEP_1)
	s_xor_b64 s[20:21], s[20:21], s[14:15]
	v_add_nc_u64_e32 v[0:1], v[4:5], v[8:9]
	s_cvt_f32_u32 s2, s20
	s_cvt_f32_u32 s15, s21
	s_sub_nc_u64 s[24:25], 0, s[20:21]
	v_dual_mov_b32 v7, v3 :: v_dual_mov_b32 v15, v3
	s_delay_alu instid0(SALU_CYCLE_1) | instskip(NEXT) | instid1(VALU_DEP_2)
	s_fmamk_f32 s2, s15, 0x4f800000, s2
	v_xor_b32_e32 v2, v0, v8
	v_xor_b32_e32 v6, v1, v8
	s_delay_alu instid0(SALU_CYCLE_1) | instskip(NEXT) | instid1(TRANS32_DEP_1)
	v_s_rcp_f32 s2, s2
	s_mul_f32 s2, s2, 0x5f7ffffc
	s_delay_alu instid0(SALU_CYCLE_3) | instskip(NEXT) | instid1(SALU_CYCLE_3)
	s_mul_f32 s15, s2, 0x2f800000
	s_trunc_f32 s15, s15
	s_delay_alu instid0(SALU_CYCLE_3) | instskip(SKIP_1) | instid1(SALU_CYCLE_2)
	s_fmamk_f32 s2, s15, 0xcf800000, s2
	s_cvt_u32_f32 s23, s15
	s_cvt_u32_f32 s22, s2
	s_delay_alu instid0(SALU_CYCLE_3) | instskip(NEXT) | instid1(SALU_CYCLE_1)
	s_mul_u64 s[26:27], s[24:25], s[22:23]
	s_mul_hi_u32 s31, s22, s27
	s_mul_i32 s30, s22, s27
	s_mul_hi_u32 s28, s22, s26
	s_mul_i32 s15, s23, s26
	s_add_nc_u64 s[30:31], s[28:29], s[30:31]
	s_mul_hi_u32 s2, s23, s26
	s_mul_hi_u32 s33, s23, s27
	s_add_co_u32 s15, s30, s15
	s_add_co_ci_u32 s28, s31, s2
	s_mul_i32 s26, s23, s27
	s_add_co_ci_u32 s27, s33, 0
	s_delay_alu instid0(SALU_CYCLE_1) | instskip(NEXT) | instid1(SALU_CYCLE_1)
	s_add_nc_u64 s[26:27], s[28:29], s[26:27]
	s_add_co_u32 s22, s22, s26
	s_cselect_b32 s2, -1, 0
	s_delay_alu instid0(SALU_CYCLE_1) | instskip(SKIP_1) | instid1(SALU_CYCLE_1)
	s_cmp_lg_u32 s2, 0
	s_add_co_ci_u32 s23, s23, s27
	s_mul_u64 s[24:25], s[24:25], s[22:23]
	s_delay_alu instid0(SALU_CYCLE_1)
	s_mul_hi_u32 s27, s22, s25
	s_mul_i32 s26, s22, s25
	s_mul_hi_u32 s28, s22, s24
	s_mul_i32 s15, s23, s24
	s_add_nc_u64 s[26:27], s[28:29], s[26:27]
	s_mul_hi_u32 s2, s23, s24
	s_mul_hi_u32 s30, s23, s25
	s_add_co_u32 s15, s26, s15
	s_add_co_ci_u32 s28, s27, s2
	s_mul_i32 s24, s23, s25
	s_add_co_ci_u32 s25, s30, 0
	s_delay_alu instid0(SALU_CYCLE_1) | instskip(NEXT) | instid1(SALU_CYCLE_1)
	s_add_nc_u64 s[24:25], s[28:29], s[24:25]
	s_add_co_u32 s2, s22, s24
	s_cselect_b32 s15, -1, 0
	v_nop
	v_mul_hi_u32 v14, v2, s2
	s_cmp_lg_u32 s15, 0
	s_add_co_ci_u32 s28, s23, s25
	s_mov_b64 s[22:23], 0xffffffff
	v_mul_u64_e32 v[10:11], s[28:29], v[2:3]
	s_and_b64 s[22:23], s[2:3], s[22:23]
	v_mul_u64_e32 v[12:13], s[28:29], v[6:7]
	v_mul_u64_e32 v[0:1], s[22:23], v[6:7]
	s_delay_alu instid0(VALU_DEP_3) | instskip(NEXT) | instid1(VALU_DEP_1)
	v_add_nc_u64_e32 v[10:11], v[14:15], v[10:11]
	v_add_co_u32 v0, vcc_lo, v10, v0
	s_delay_alu instid0(VALU_DEP_2) | instskip(SKIP_1) | instid1(VALU_DEP_1)
	v_add_co_ci_u32_e32 v14, vcc_lo, v11, v1, vcc_lo
	v_add_co_ci_u32_e32 v13, vcc_lo, 0, v13, vcc_lo
	v_add_nc_u64_e32 v[0:1], v[14:15], v[12:13]
	s_delay_alu instid0(VALU_DEP_1) | instskip(NEXT) | instid1(VALU_DEP_1)
	v_mul_u64_e32 v[10:11], s[20:21], v[0:1]
	v_sub_nc_u32_e32 v3, v6, v11
	s_delay_alu instid0(VALU_DEP_2) | instskip(NEXT) | instid1(VALU_DEP_1)
	v_sub_co_u32 v2, vcc_lo, v2, v10
	v_sub_co_ci_u32_e64 v9, null, v6, v11, vcc_lo
	s_delay_alu instid0(VALU_DEP_3) | instskip(NEXT) | instid1(VALU_DEP_3)
	v_subrev_co_ci_u32_e64 v3, null, s21, v3, vcc_lo
	v_sub_co_u32 v7, s2, v2, s20
	s_delay_alu instid0(VALU_DEP_1) | instskip(NEXT) | instid1(VALU_DEP_2)
	v_subrev_co_ci_u32_e64 v3, null, 0, v3, s2
	v_cmp_le_u32_e32 vcc_lo, s20, v7
	v_cndmask_b32_e64 v6, 0, -1, vcc_lo
	s_delay_alu instid0(VALU_DEP_3)
	v_cmp_le_u32_e32 vcc_lo, s21, v3
	v_cndmask_b32_e64 v7, 0, -1, vcc_lo
	v_cmp_le_u32_e32 vcc_lo, s20, v2
	v_cndmask_b32_e64 v10, 0, -1, vcc_lo
	;; [unrolled: 2-line block ×3, first 2 shown]
	v_cmp_eq_u32_e32 vcc_lo, s21, v3
	v_add_nc_u64_e32 v[2:3], 2, v[0:1]
	v_cndmask_b32_e32 v12, v7, v6, vcc_lo
	v_cmp_eq_u32_e32 vcc_lo, s21, v9
	v_add_nc_u64_e32 v[6:7], 1, v[0:1]
	v_cndmask_b32_e32 v9, v11, v10, vcc_lo
	s_delay_alu instid0(VALU_DEP_4) | instskip(NEXT) | instid1(VALU_DEP_3)
	v_cmp_ne_u32_e32 vcc_lo, 0, v12
	v_dual_cndmask_b32 v3, v7, v3 :: v_dual_cndmask_b32 v6, v6, v2
	v_xor_b32_e32 v2, s14, v8
	s_delay_alu instid0(VALU_DEP_4) | instskip(NEXT) | instid1(VALU_DEP_1)
	v_cmp_ne_u32_e64 s2, 0, v9
	v_dual_cndmask_b32 v1, v1, v3, s2 :: v_dual_cndmask_b32 v0, v0, v6, s2
	s_delay_alu instid0(VALU_DEP_1) | instskip(NEXT) | instid1(VALU_DEP_2)
	v_dual_mov_b32 v3, v2 :: v_dual_bitop2_b32 v1, v1, v2 bitop3:0x14
	v_xor_b32_e32 v0, v0, v2
	s_delay_alu instid0(VALU_DEP_1)
	v_sub_nc_u64_e32 v[0:1], v[0:1], v[2:3]
.LBB34_3:
	s_and_not1_saveexec_b32 s2, s3
	s_cbranch_execz .LBB34_5
; %bb.4:
	v_cvt_f32_u32_e32 v0, s12
	s_sub_co_i32 s3, 0, s12
	s_delay_alu instid0(VALU_DEP_1) | instskip(SKIP_1) | instid1(TRANS32_DEP_1)
	v_rcp_iflag_f32_e32 v0, v0
	v_nop
	v_mul_f32_e32 v0, 0x4f7ffffe, v0
	s_delay_alu instid0(VALU_DEP_1) | instskip(NEXT) | instid1(VALU_DEP_1)
	v_cvt_u32_f32_e32 v0, v0
	v_mul_lo_u32 v1, s3, v0
	s_delay_alu instid0(VALU_DEP_1) | instskip(NEXT) | instid1(VALU_DEP_1)
	v_mul_hi_u32 v1, v0, v1
	v_add_nc_u32_e32 v0, v0, v1
	s_delay_alu instid0(VALU_DEP_1) | instskip(NEXT) | instid1(VALU_DEP_1)
	v_mul_hi_u32 v0, v4, v0
	v_mul_lo_u32 v1, v0, s12
	s_delay_alu instid0(VALU_DEP_1) | instskip(NEXT) | instid1(VALU_DEP_1)
	v_dual_add_nc_u32 v2, 1, v0 :: v_dual_sub_nc_u32 v1, v4, v1
	v_subrev_nc_u32_e32 v3, s12, v1
	v_cmp_le_u32_e32 vcc_lo, s12, v1
	s_delay_alu instid0(VALU_DEP_2) | instskip(NEXT) | instid1(VALU_DEP_1)
	v_dual_cndmask_b32 v1, v1, v3 :: v_dual_cndmask_b32 v0, v0, v2
	v_cmp_le_u32_e32 vcc_lo, s12, v1
	s_delay_alu instid0(VALU_DEP_2) | instskip(NEXT) | instid1(VALU_DEP_1)
	v_dual_mov_b32 v1, 0 :: v_dual_add_nc_u32 v2, 1, v0
	v_cndmask_b32_e32 v0, v0, v2, vcc_lo
.LBB34_5:
	s_or_b32 exec_lo, exec_lo, s2
	s_delay_alu instid0(VALU_DEP_1) | instskip(SKIP_2) | instid1(VALU_DEP_2)
	v_mul_u64_e32 v[2:3], s[12:13], v[0:1]
	s_mov_b32 s2, exec_lo
	v_mov_b32_e32 v10, 0
	v_sub_nc_u64_e32 v[6:7], v[4:5], v[2:3]
                                        ; implicit-def: $vgpr2_vgpr3
	s_delay_alu instid0(VALU_DEP_1) | instskip(NEXT) | instid1(VALU_DEP_1)
	v_or_b32_e32 v11, s9, v7
	v_cmpx_ne_u64_e32 0, v[10:11]
	s_xor_b32 s3, exec_lo, s2
	s_cbranch_execz .LBB34_7
; %bb.6:
	s_ashr_i32 s12, s9, 31
	s_mov_b32 s27, 0
	s_mov_b32 s13, s12
	v_dual_mov_b32 v15, v10 :: v_dual_ashrrev_i32 v2, 31, v7
	s_add_nc_u64 s[14:15], s[8:9], s[12:13]
	v_dual_mov_b32 v23, v10 :: v_dual_mov_b32 v11, v10
	s_xor_b64 s[14:15], s[14:15], s[12:13]
	s_delay_alu instid0(VALU_DEP_2) | instskip(SKIP_3) | instid1(VALU_DEP_1)
	v_mov_b32_e32 v3, v2
	s_cvt_f32_u32 s2, s14
	s_cvt_f32_u32 s13, s15
	s_sub_nc_u64 s[22:23], 0, s[14:15]
	v_add_nc_u64_e32 v[12:13], v[6:7], v[2:3]
	s_delay_alu instid0(SALU_CYCLE_1) | instskip(SKIP_1) | instid1(SALU_CYCLE_2)
	s_fmamk_f32 s2, s13, 0x4f800000, s2
	v_mov_b32_e32 v17, v10
	v_s_rcp_f32 s2, s2
	s_delay_alu instid0(VALU_DEP_2) | instskip(NEXT) | instid1(VALU_DEP_3)
	v_xor_b32_e32 v14, v12, v2
	v_xor_b32_e32 v16, v13, v2
	;; [unrolled: 1-line block ×3, first 2 shown]
	s_delay_alu instid0(TRANS32_DEP_1) | instskip(NEXT) | instid1(SALU_CYCLE_3)
	s_mul_f32 s2, s2, 0x5f7ffffc
	s_mul_f32 s13, s2, 0x2f800000
	s_delay_alu instid0(SALU_CYCLE_3) | instskip(NEXT) | instid1(SALU_CYCLE_3)
	s_trunc_f32 s13, s13
	s_fmamk_f32 s2, s13, 0xcf800000, s2
	s_cvt_u32_f32 s21, s13
	s_delay_alu instid0(SALU_CYCLE_2) | instskip(NEXT) | instid1(SALU_CYCLE_3)
	s_cvt_u32_f32 s20, s2
	s_mul_u64 s[24:25], s[22:23], s[20:21]
	s_delay_alu instid0(SALU_CYCLE_1)
	s_mul_hi_u32 s29, s20, s25
	s_mul_i32 s28, s20, s25
	s_mul_hi_u32 s26, s20, s24
	s_mul_i32 s13, s21, s24
	s_add_nc_u64 s[28:29], s[26:27], s[28:29]
	s_mul_hi_u32 s2, s21, s24
	s_mul_hi_u32 s30, s21, s25
	s_add_co_u32 s13, s28, s13
	s_add_co_ci_u32 s26, s29, s2
	s_mul_i32 s24, s21, s25
	s_add_co_ci_u32 s25, s30, 0
	s_delay_alu instid0(SALU_CYCLE_1) | instskip(NEXT) | instid1(SALU_CYCLE_1)
	s_add_nc_u64 s[24:25], s[26:27], s[24:25]
	s_add_co_u32 s20, s20, s24
	s_cselect_b32 s2, -1, 0
	s_delay_alu instid0(SALU_CYCLE_1) | instskip(SKIP_1) | instid1(SALU_CYCLE_1)
	s_cmp_lg_u32 s2, 0
	s_add_co_ci_u32 s21, s21, s25
	s_mul_u64 s[22:23], s[22:23], s[20:21]
	s_delay_alu instid0(SALU_CYCLE_1)
	s_mul_hi_u32 s25, s20, s23
	s_mul_i32 s24, s20, s23
	s_mul_hi_u32 s26, s20, s22
	s_mul_i32 s13, s21, s22
	s_add_nc_u64 s[24:25], s[26:27], s[24:25]
	s_mul_hi_u32 s2, s21, s22
	s_mul_hi_u32 s28, s21, s23
	s_add_co_u32 s13, s24, s13
	s_add_co_ci_u32 s26, s25, s2
	s_mul_i32 s22, s21, s23
	s_add_co_ci_u32 s23, s28, 0
	s_delay_alu instid0(SALU_CYCLE_1) | instskip(NEXT) | instid1(SALU_CYCLE_1)
	s_add_nc_u64 s[22:23], s[26:27], s[22:23]
	s_add_co_u32 s2, s20, s22
	s_cselect_b32 s13, -1, 0
	v_mul_hi_u32 v22, v14, s2
	s_cmp_lg_u32 s13, 0
	s_add_co_ci_u32 s26, s21, s23
	s_mov_b64 s[20:21], 0xffffffff
	v_mul_u64_e32 v[18:19], s[26:27], v[14:15]
	s_and_b64 s[20:21], s[2:3], s[20:21]
	v_mul_u64_e32 v[20:21], s[26:27], v[16:17]
	v_mul_u64_e32 v[12:13], s[20:21], v[16:17]
	s_delay_alu instid0(VALU_DEP_3) | instskip(NEXT) | instid1(VALU_DEP_1)
	v_add_nc_u64_e32 v[18:19], v[22:23], v[18:19]
	v_add_co_u32 v3, vcc_lo, v18, v12
	s_delay_alu instid0(VALU_DEP_2) | instskip(SKIP_1) | instid1(VALU_DEP_1)
	v_add_co_ci_u32_e32 v10, vcc_lo, v19, v13, vcc_lo
	v_add_co_ci_u32_e32 v21, vcc_lo, 0, v21, vcc_lo
	v_add_nc_u64_e32 v[10:11], v[10:11], v[20:21]
	s_delay_alu instid0(VALU_DEP_1) | instskip(NEXT) | instid1(VALU_DEP_1)
	v_mul_u64_e32 v[12:13], s[14:15], v[10:11]
	v_sub_co_u32 v9, vcc_lo, v14, v12
	v_add_nc_u64_e32 v[14:15], 1, v[10:11]
	s_delay_alu instid0(VALU_DEP_3) | instskip(SKIP_1) | instid1(VALU_DEP_4)
	v_sub_nc_u32_e32 v3, v16, v13
	v_sub_co_ci_u32_e64 v16, null, v16, v13, vcc_lo
	v_sub_co_u32 v12, s2, v9, s14
	s_delay_alu instid0(VALU_DEP_3) | instskip(NEXT) | instid1(VALU_DEP_2)
	v_subrev_co_ci_u32_e64 v3, null, s15, v3, vcc_lo
	v_cmp_le_u32_e32 vcc_lo, s14, v12
	s_delay_alu instid0(VALU_DEP_2) | instskip(SKIP_1) | instid1(VALU_DEP_2)
	v_subrev_co_ci_u32_e64 v3, null, 0, v3, s2
	v_cndmask_b32_e64 v12, 0, -1, vcc_lo
	v_cmp_le_u32_e32 vcc_lo, s15, v3
	v_cndmask_b32_e64 v13, 0, -1, vcc_lo
	v_cmp_le_u32_e32 vcc_lo, s14, v9
	;; [unrolled: 2-line block ×3, first 2 shown]
	v_cndmask_b32_e64 v17, 0, -1, vcc_lo
	v_cmp_eq_u32_e32 vcc_lo, s15, v3
	v_cndmask_b32_e32 v3, v13, v12, vcc_lo
	v_cmp_eq_u32_e32 vcc_lo, s15, v16
	v_add_nc_u64_e32 v[12:13], 2, v[10:11]
	v_cndmask_b32_e32 v9, v17, v9, vcc_lo
	s_delay_alu instid0(VALU_DEP_4) | instskip(NEXT) | instid1(VALU_DEP_2)
	v_cmp_ne_u32_e32 vcc_lo, 0, v3
	v_cmp_ne_u32_e64 s2, 0, v9
	s_delay_alu instid0(VALU_DEP_4) | instskip(NEXT) | instid1(VALU_DEP_1)
	v_cndmask_b32_e32 v9, v14, v12, vcc_lo
	v_cndmask_b32_e64 v9, v10, v9, s2
	s_delay_alu instid0(VALU_DEP_1) | instskip(NEXT) | instid1(VALU_DEP_1)
	v_dual_cndmask_b32 v3, v15, v13, vcc_lo :: v_dual_bitop2_b32 v10, v9, v2 bitop3:0x14
	v_dual_cndmask_b32 v11, v11, v3, s2 :: v_dual_mov_b32 v3, v2
	s_delay_alu instid0(VALU_DEP_1) | instskip(NEXT) | instid1(VALU_DEP_1)
	v_xor_b32_e32 v11, v11, v2
	v_sub_nc_u64_e32 v[2:3], v[10:11], v[2:3]
.LBB34_7:
	s_and_not1_saveexec_b32 s2, s3
	s_cbranch_execz .LBB34_9
; %bb.8:
	v_cvt_f32_u32_e32 v2, s8
	s_sub_co_i32 s3, 0, s8
	s_delay_alu instid0(VALU_DEP_1) | instskip(SKIP_1) | instid1(TRANS32_DEP_1)
	v_rcp_iflag_f32_e32 v2, v2
	v_nop
	v_mul_f32_e32 v2, 0x4f7ffffe, v2
	s_delay_alu instid0(VALU_DEP_1) | instskip(NEXT) | instid1(VALU_DEP_1)
	v_cvt_u32_f32_e32 v2, v2
	v_mul_lo_u32 v3, s3, v2
	s_delay_alu instid0(VALU_DEP_1) | instskip(NEXT) | instid1(VALU_DEP_1)
	v_mul_hi_u32 v3, v2, v3
	v_add_nc_u32_e32 v2, v2, v3
	s_delay_alu instid0(VALU_DEP_1) | instskip(NEXT) | instid1(VALU_DEP_1)
	v_mul_hi_u32 v2, v6, v2
	v_mul_lo_u32 v3, v2, s8
	s_delay_alu instid0(VALU_DEP_1) | instskip(NEXT) | instid1(VALU_DEP_1)
	v_dual_add_nc_u32 v9, 1, v2 :: v_dual_sub_nc_u32 v3, v6, v3
	v_subrev_nc_u32_e32 v10, s8, v3
	v_cmp_le_u32_e32 vcc_lo, s8, v3
	s_delay_alu instid0(VALU_DEP_2) | instskip(NEXT) | instid1(VALU_DEP_1)
	v_dual_cndmask_b32 v3, v3, v10 :: v_dual_cndmask_b32 v2, v2, v9
	v_cmp_le_u32_e32 vcc_lo, s8, v3
	s_delay_alu instid0(VALU_DEP_2) | instskip(NEXT) | instid1(VALU_DEP_1)
	v_dual_add_nc_u32 v9, 1, v2 :: v_dual_mov_b32 v3, 0
	v_cndmask_b32_e32 v2, v2, v9, vcc_lo
.LBB34_9:
	s_or_b32 exec_lo, exec_lo, s2
	s_delay_alu instid0(VALU_DEP_1) | instskip(SKIP_2) | instid1(VALU_DEP_2)
	v_mul_u64_e32 v[10:11], s[8:9], v[2:3]
	s_mov_b32 s2, exec_lo
	v_mov_b32_e32 v12, 0
	v_sub_nc_u64_e32 v[6:7], v[6:7], v[10:11]
                                        ; implicit-def: $vgpr10_vgpr11
	s_delay_alu instid0(VALU_DEP_1) | instskip(NEXT) | instid1(VALU_DEP_1)
	v_or_b32_e32 v13, s11, v7
	v_cmpx_ne_u64_e32 0, v[12:13]
	s_xor_b32 s3, exec_lo, s2
	s_cbranch_execz .LBB34_11
; %bb.10:
	s_ashr_i32 s8, s11, 31
	s_mov_b32 s25, 0
	s_mov_b32 s9, s8
	v_dual_mov_b32 v17, v12 :: v_dual_ashrrev_i32 v10, 31, v7
	s_add_nc_u64 s[12:13], s[10:11], s[8:9]
	v_mov_b32_e32 v19, v12
	s_xor_b64 s[12:13], s[12:13], s[8:9]
	s_delay_alu instid0(VALU_DEP_2)
	v_mov_b32_e32 v11, v10
	s_cvt_f32_u32 s2, s12
	s_cvt_f32_u32 s9, s13
	s_sub_nc_u64 s[20:21], 0, s[12:13]
	v_mov_b32_e32 v25, v12
	v_add_nc_u64_e32 v[14:15], v[6:7], v[10:11]
	s_fmamk_f32 s2, s9, 0x4f800000, s2
	v_mov_b32_e32 v13, v12
	s_delay_alu instid0(SALU_CYCLE_2) | instskip(NEXT) | instid1(VALU_DEP_2)
	v_s_rcp_f32 s2, s2
	v_xor_b32_e32 v16, v14, v10
	s_delay_alu instid0(VALU_DEP_3) | instskip(SKIP_1) | instid1(TRANS32_DEP_1)
	v_xor_b32_e32 v18, v15, v10
	v_xor_b32_e32 v10, s8, v10
	s_mul_f32 s2, s2, 0x5f7ffffc
	s_delay_alu instid0(SALU_CYCLE_3) | instskip(NEXT) | instid1(SALU_CYCLE_3)
	s_mul_f32 s9, s2, 0x2f800000
	s_trunc_f32 s9, s9
	s_delay_alu instid0(SALU_CYCLE_3) | instskip(SKIP_1) | instid1(SALU_CYCLE_2)
	s_fmamk_f32 s2, s9, 0xcf800000, s2
	s_cvt_u32_f32 s15, s9
	s_cvt_u32_f32 s14, s2
	s_delay_alu instid0(SALU_CYCLE_3) | instskip(NEXT) | instid1(SALU_CYCLE_1)
	s_mul_u64 s[22:23], s[20:21], s[14:15]
	s_mul_hi_u32 s27, s14, s23
	s_mul_i32 s26, s14, s23
	s_mul_hi_u32 s24, s14, s22
	s_mul_i32 s9, s15, s22
	s_add_nc_u64 s[26:27], s[24:25], s[26:27]
	s_mul_hi_u32 s2, s15, s22
	s_mul_hi_u32 s28, s15, s23
	s_add_co_u32 s9, s26, s9
	s_add_co_ci_u32 s24, s27, s2
	s_mul_i32 s22, s15, s23
	s_add_co_ci_u32 s23, s28, 0
	s_delay_alu instid0(SALU_CYCLE_1) | instskip(NEXT) | instid1(SALU_CYCLE_1)
	s_add_nc_u64 s[22:23], s[24:25], s[22:23]
	s_add_co_u32 s14, s14, s22
	s_cselect_b32 s2, -1, 0
	s_delay_alu instid0(SALU_CYCLE_1) | instskip(SKIP_1) | instid1(SALU_CYCLE_1)
	s_cmp_lg_u32 s2, 0
	s_add_co_ci_u32 s15, s15, s23
	s_mul_u64 s[20:21], s[20:21], s[14:15]
	s_delay_alu instid0(SALU_CYCLE_1)
	s_mul_hi_u32 s23, s14, s21
	s_mul_i32 s22, s14, s21
	s_mul_hi_u32 s24, s14, s20
	s_mul_i32 s9, s15, s20
	s_add_nc_u64 s[22:23], s[24:25], s[22:23]
	s_mul_hi_u32 s2, s15, s20
	s_mul_hi_u32 s26, s15, s21
	s_add_co_u32 s9, s22, s9
	s_add_co_ci_u32 s24, s23, s2
	s_mul_i32 s20, s15, s21
	s_add_co_ci_u32 s21, s26, 0
	s_delay_alu instid0(SALU_CYCLE_1) | instskip(NEXT) | instid1(SALU_CYCLE_1)
	s_add_nc_u64 s[20:21], s[24:25], s[20:21]
	s_add_co_u32 s2, s14, s20
	s_cselect_b32 s9, -1, 0
	v_mul_hi_u32 v24, v16, s2
	s_cmp_lg_u32 s9, 0
	s_add_co_ci_u32 s24, s15, s21
	s_mov_b64 s[14:15], 0xffffffff
	v_mul_u64_e32 v[20:21], s[24:25], v[16:17]
	s_and_b64 s[14:15], s[2:3], s[14:15]
	v_mul_u64_e32 v[22:23], s[24:25], v[18:19]
	v_mul_u64_e32 v[14:15], s[14:15], v[18:19]
	s_delay_alu instid0(VALU_DEP_3) | instskip(NEXT) | instid1(VALU_DEP_1)
	v_add_nc_u64_e32 v[20:21], v[24:25], v[20:21]
	v_add_co_u32 v9, vcc_lo, v20, v14
	s_delay_alu instid0(VALU_DEP_2) | instskip(SKIP_1) | instid1(VALU_DEP_1)
	v_add_co_ci_u32_e32 v12, vcc_lo, v21, v15, vcc_lo
	v_add_co_ci_u32_e32 v23, vcc_lo, 0, v23, vcc_lo
	v_add_nc_u64_e32 v[12:13], v[12:13], v[22:23]
	s_delay_alu instid0(VALU_DEP_1) | instskip(NEXT) | instid1(VALU_DEP_1)
	v_mul_u64_e32 v[14:15], s[12:13], v[12:13]
	v_sub_co_u32 v11, vcc_lo, v16, v14
	v_add_nc_u64_e32 v[16:17], 1, v[12:13]
	s_delay_alu instid0(VALU_DEP_3) | instskip(SKIP_1) | instid1(VALU_DEP_4)
	v_sub_nc_u32_e32 v9, v18, v15
	v_sub_co_ci_u32_e64 v18, null, v18, v15, vcc_lo
	v_sub_co_u32 v14, s2, v11, s12
	s_delay_alu instid0(VALU_DEP_3) | instskip(NEXT) | instid1(VALU_DEP_2)
	v_subrev_co_ci_u32_e64 v9, null, s13, v9, vcc_lo
	v_cmp_le_u32_e32 vcc_lo, s12, v14
	s_delay_alu instid0(VALU_DEP_2) | instskip(SKIP_1) | instid1(VALU_DEP_2)
	v_subrev_co_ci_u32_e64 v9, null, 0, v9, s2
	v_cndmask_b32_e64 v14, 0, -1, vcc_lo
	v_cmp_le_u32_e32 vcc_lo, s13, v9
	v_cndmask_b32_e64 v15, 0, -1, vcc_lo
	v_cmp_le_u32_e32 vcc_lo, s12, v11
	;; [unrolled: 2-line block ×3, first 2 shown]
	v_cndmask_b32_e64 v19, 0, -1, vcc_lo
	v_cmp_eq_u32_e32 vcc_lo, s13, v9
	v_cndmask_b32_e32 v9, v15, v14, vcc_lo
	v_cmp_eq_u32_e32 vcc_lo, s13, v18
	v_add_nc_u64_e32 v[14:15], 2, v[12:13]
	v_cndmask_b32_e32 v11, v19, v11, vcc_lo
	s_delay_alu instid0(VALU_DEP_4) | instskip(NEXT) | instid1(VALU_DEP_2)
	v_cmp_ne_u32_e32 vcc_lo, 0, v9
	v_cmp_ne_u32_e64 s2, 0, v11
	s_delay_alu instid0(VALU_DEP_4) | instskip(NEXT) | instid1(VALU_DEP_1)
	v_dual_cndmask_b32 v9, v17, v15, vcc_lo :: v_dual_cndmask_b32 v11, v16, v14, vcc_lo
	v_dual_cndmask_b32 v12, v12, v11, s2 :: v_dual_mov_b32 v11, v10
	s_delay_alu instid0(VALU_DEP_1) | instskip(NEXT) | instid1(VALU_DEP_1)
	v_dual_cndmask_b32 v9, v13, v9, s2 :: v_dual_bitop2_b32 v12, v12, v10 bitop3:0x14
	v_xor_b32_e32 v13, v9, v10
	s_delay_alu instid0(VALU_DEP_1)
	v_sub_nc_u64_e32 v[10:11], v[12:13], v[10:11]
.LBB34_11:
	s_and_not1_saveexec_b32 s2, s3
	s_cbranch_execz .LBB34_13
; %bb.12:
	v_cvt_f32_u32_e32 v9, s10
	s_sub_co_i32 s3, 0, s10
	s_delay_alu instid0(VALU_DEP_1) | instskip(SKIP_1) | instid1(TRANS32_DEP_1)
	v_rcp_iflag_f32_e32 v9, v9
	v_nop
	v_mul_f32_e32 v9, 0x4f7ffffe, v9
	s_delay_alu instid0(VALU_DEP_1) | instskip(NEXT) | instid1(VALU_DEP_1)
	v_cvt_u32_f32_e32 v9, v9
	v_mul_lo_u32 v10, s3, v9
	s_delay_alu instid0(VALU_DEP_1) | instskip(NEXT) | instid1(VALU_DEP_1)
	v_mul_hi_u32 v10, v9, v10
	v_add_nc_u32_e32 v9, v9, v10
	s_delay_alu instid0(VALU_DEP_1) | instskip(NEXT) | instid1(VALU_DEP_1)
	v_mul_hi_u32 v9, v6, v9
	v_mul_lo_u32 v10, v9, s10
	s_delay_alu instid0(VALU_DEP_1) | instskip(NEXT) | instid1(VALU_DEP_1)
	v_dual_add_nc_u32 v11, 1, v9 :: v_dual_sub_nc_u32 v10, v6, v10
	v_subrev_nc_u32_e32 v12, s10, v10
	v_cmp_le_u32_e32 vcc_lo, s10, v10
	s_delay_alu instid0(VALU_DEP_2) | instskip(NEXT) | instid1(VALU_DEP_1)
	v_dual_cndmask_b32 v10, v10, v12 :: v_dual_cndmask_b32 v9, v9, v11
	v_cmp_le_u32_e32 vcc_lo, s10, v10
	s_delay_alu instid0(VALU_DEP_2) | instskip(NEXT) | instid1(VALU_DEP_1)
	v_add_nc_u32_e32 v11, 1, v9
	v_dual_cndmask_b32 v10, v9, v11 :: v_dual_mov_b32 v11, 0
.LBB34_13:
	s_or_b32 exec_lo, exec_lo, s2
	s_load_b512 s[36:51], s[0:1], 0x40
                                        ; implicit-def: $vgpr12_vgpr13
	s_mov_b32 s2, exec_lo
	v_mov_b32_e32 v14, 0
	s_wait_kmcnt 0x0
	s_mul_u64 s[8:9], s[42:43], s[40:41]
	s_delay_alu instid0(SALU_CYCLE_1) | instskip(NEXT) | instid1(SALU_CYCLE_1)
	s_mul_u64 s[12:13], s[8:9], s[44:45]
	v_or_b32_e32 v15, s13, v5
	s_delay_alu instid0(VALU_DEP_1)
	v_cmpx_ne_u64_e32 0, v[14:15]
	s_xor_b32 s3, exec_lo, s2
	s_cbranch_execz .LBB34_15
; %bb.14:
	s_ashr_i32 s14, s13, 31
	s_mov_b32 s29, 0
	s_mov_b32 s15, s14
	v_dual_mov_b32 v9, v8 :: v_dual_mov_b32 v17, v14
	s_add_nc_u64 s[20:21], s[12:13], s[14:15]
	v_mov_b32_e32 v15, v14
	s_xor_b64 s[20:21], s[20:21], s[14:15]
	s_delay_alu instid0(VALU_DEP_2) | instskip(SKIP_4) | instid1(SALU_CYCLE_1)
	v_add_nc_u64_e32 v[12:13], v[4:5], v[8:9]
	s_cvt_f32_u32 s2, s20
	s_cvt_f32_u32 s15, s21
	s_sub_nc_u64 s[24:25], 0, s[20:21]
	v_dual_mov_b32 v19, v14 :: v_dual_mov_b32 v25, v14
	s_fmamk_f32 s2, s15, 0x4f800000, s2
	s_delay_alu instid0(VALU_DEP_2) | instskip(SKIP_3) | instid1(TRANS32_DEP_1)
	v_xor_b32_e32 v16, v12, v8
	v_xor_b32_e32 v18, v13, v8
	;; [unrolled: 1-line block ×3, first 2 shown]
	v_s_rcp_f32 s2, s2
	s_mul_f32 s2, s2, 0x5f7ffffc
	s_delay_alu instid0(SALU_CYCLE_3) | instskip(NEXT) | instid1(SALU_CYCLE_3)
	s_mul_f32 s15, s2, 0x2f800000
	s_trunc_f32 s15, s15
	s_delay_alu instid0(SALU_CYCLE_3) | instskip(SKIP_1) | instid1(SALU_CYCLE_2)
	s_fmamk_f32 s2, s15, 0xcf800000, s2
	s_cvt_u32_f32 s23, s15
	s_cvt_u32_f32 s22, s2
	s_delay_alu instid0(SALU_CYCLE_3) | instskip(NEXT) | instid1(SALU_CYCLE_1)
	s_mul_u64 s[26:27], s[24:25], s[22:23]
	s_mul_hi_u32 s31, s22, s27
	s_mul_i32 s30, s22, s27
	s_mul_hi_u32 s28, s22, s26
	s_mul_i32 s15, s23, s26
	s_add_nc_u64 s[30:31], s[28:29], s[30:31]
	s_mul_hi_u32 s2, s23, s26
	s_mul_hi_u32 s33, s23, s27
	s_add_co_u32 s15, s30, s15
	s_add_co_ci_u32 s28, s31, s2
	s_mul_i32 s26, s23, s27
	s_add_co_ci_u32 s27, s33, 0
	s_delay_alu instid0(SALU_CYCLE_1) | instskip(NEXT) | instid1(SALU_CYCLE_1)
	s_add_nc_u64 s[26:27], s[28:29], s[26:27]
	s_add_co_u32 s22, s22, s26
	s_cselect_b32 s2, -1, 0
	s_delay_alu instid0(SALU_CYCLE_1) | instskip(SKIP_1) | instid1(SALU_CYCLE_1)
	s_cmp_lg_u32 s2, 0
	s_add_co_ci_u32 s23, s23, s27
	s_mul_u64 s[24:25], s[24:25], s[22:23]
	s_delay_alu instid0(SALU_CYCLE_1)
	s_mul_hi_u32 s27, s22, s25
	s_mul_i32 s26, s22, s25
	s_mul_hi_u32 s28, s22, s24
	s_mul_i32 s15, s23, s24
	s_add_nc_u64 s[26:27], s[28:29], s[26:27]
	s_mul_hi_u32 s2, s23, s24
	s_mul_hi_u32 s30, s23, s25
	s_add_co_u32 s15, s26, s15
	s_add_co_ci_u32 s28, s27, s2
	s_mul_i32 s24, s23, s25
	s_add_co_ci_u32 s25, s30, 0
	s_delay_alu instid0(SALU_CYCLE_1) | instskip(NEXT) | instid1(SALU_CYCLE_1)
	s_add_nc_u64 s[24:25], s[28:29], s[24:25]
	s_add_co_u32 s2, s22, s24
	s_cselect_b32 s15, -1, 0
	v_nop
	v_mul_hi_u32 v24, v16, s2
	s_cmp_lg_u32 s15, 0
	s_add_co_ci_u32 s28, s23, s25
	s_mov_b64 s[22:23], 0xffffffff
	v_mul_u64_e32 v[20:21], s[28:29], v[16:17]
	s_and_b64 s[22:23], s[2:3], s[22:23]
	v_mul_u64_e32 v[22:23], s[28:29], v[18:19]
	v_mul_u64_e32 v[12:13], s[22:23], v[18:19]
	s_delay_alu instid0(VALU_DEP_3) | instskip(NEXT) | instid1(VALU_DEP_1)
	v_add_nc_u64_e32 v[20:21], v[24:25], v[20:21]
	v_add_co_u32 v9, vcc_lo, v20, v12
	s_delay_alu instid0(VALU_DEP_2) | instskip(SKIP_1) | instid1(VALU_DEP_1)
	v_add_co_ci_u32_e32 v14, vcc_lo, v21, v13, vcc_lo
	v_add_co_ci_u32_e32 v23, vcc_lo, 0, v23, vcc_lo
	v_add_nc_u64_e32 v[12:13], v[14:15], v[22:23]
	s_delay_alu instid0(VALU_DEP_1) | instskip(NEXT) | instid1(VALU_DEP_1)
	v_mul_u64_e32 v[14:15], s[20:21], v[12:13]
	v_sub_nc_u32_e32 v9, v18, v15
	s_delay_alu instid0(VALU_DEP_2) | instskip(NEXT) | instid1(VALU_DEP_1)
	v_sub_co_u32 v14, vcc_lo, v16, v14
	v_sub_co_ci_u32_e64 v18, null, v18, v15, vcc_lo
	s_delay_alu instid0(VALU_DEP_3) | instskip(NEXT) | instid1(VALU_DEP_3)
	v_subrev_co_ci_u32_e64 v9, null, s21, v9, vcc_lo
	v_sub_co_u32 v16, s2, v14, s20
	s_delay_alu instid0(VALU_DEP_1) | instskip(NEXT) | instid1(VALU_DEP_2)
	v_subrev_co_ci_u32_e64 v9, null, 0, v9, s2
	v_cmp_le_u32_e32 vcc_lo, s20, v16
	v_cndmask_b32_e64 v15, 0, -1, vcc_lo
	s_delay_alu instid0(VALU_DEP_3)
	v_cmp_le_u32_e32 vcc_lo, s21, v9
	v_cndmask_b32_e64 v16, 0, -1, vcc_lo
	v_cmp_le_u32_e32 vcc_lo, s20, v14
	v_cndmask_b32_e64 v19, 0, -1, vcc_lo
	;; [unrolled: 2-line block ×3, first 2 shown]
	v_cmp_eq_u32_e32 vcc_lo, s21, v9
	v_cndmask_b32_e32 v9, v16, v15, vcc_lo
	v_cmp_eq_u32_e32 vcc_lo, s21, v18
	v_add_nc_u64_e32 v[14:15], 2, v[12:13]
	v_add_nc_u64_e32 v[16:17], 1, v[12:13]
	v_cndmask_b32_e32 v18, v20, v19, vcc_lo
	v_cmp_ne_u32_e32 vcc_lo, 0, v9
	s_delay_alu instid0(VALU_DEP_2) | instskip(NEXT) | instid1(VALU_DEP_4)
	v_cmp_ne_u32_e64 s2, 0, v18
	v_dual_cndmask_b32 v14, v16, v14 :: v_dual_cndmask_b32 v9, v17, v15
	s_delay_alu instid0(VALU_DEP_1) | instskip(SKIP_1) | instid1(VALU_DEP_2)
	v_dual_cndmask_b32 v12, v12, v14, s2 :: v_dual_cndmask_b32 v13, v13, v9, s2
	v_mov_b32_e32 v9, v8
	v_xor_b32_e32 v12, v12, v8
	s_delay_alu instid0(VALU_DEP_3) | instskip(NEXT) | instid1(VALU_DEP_1)
	v_xor_b32_e32 v13, v13, v8
	v_sub_nc_u64_e32 v[12:13], v[12:13], v[8:9]
.LBB34_15:
	s_and_not1_saveexec_b32 s2, s3
	s_cbranch_execz .LBB34_17
; %bb.16:
	v_cvt_f32_u32_e32 v8, s12
	s_sub_co_i32 s3, 0, s12
	s_delay_alu instid0(VALU_DEP_1) | instskip(SKIP_1) | instid1(TRANS32_DEP_1)
	v_rcp_iflag_f32_e32 v8, v8
	v_nop
	v_mul_f32_e32 v8, 0x4f7ffffe, v8
	s_delay_alu instid0(VALU_DEP_1) | instskip(NEXT) | instid1(VALU_DEP_1)
	v_cvt_u32_f32_e32 v8, v8
	v_mul_lo_u32 v9, s3, v8
	s_delay_alu instid0(VALU_DEP_1) | instskip(NEXT) | instid1(VALU_DEP_1)
	v_mul_hi_u32 v9, v8, v9
	v_add_nc_u32_e32 v8, v8, v9
	s_delay_alu instid0(VALU_DEP_1) | instskip(NEXT) | instid1(VALU_DEP_1)
	v_mul_hi_u32 v8, v4, v8
	v_mul_lo_u32 v9, v8, s12
	s_delay_alu instid0(VALU_DEP_1) | instskip(NEXT) | instid1(VALU_DEP_1)
	v_sub_nc_u32_e32 v9, v4, v9
	v_subrev_nc_u32_e32 v13, s12, v9
	v_cmp_le_u32_e32 vcc_lo, s12, v9
	s_delay_alu instid0(VALU_DEP_2) | instskip(NEXT) | instid1(VALU_DEP_1)
	v_dual_cndmask_b32 v9, v9, v13 :: v_dual_add_nc_u32 v12, 1, v8
	v_dual_cndmask_b32 v8, v8, v12 :: v_dual_mov_b32 v13, 0
	s_delay_alu instid0(VALU_DEP_2) | instskip(NEXT) | instid1(VALU_DEP_2)
	v_cmp_le_u32_e32 vcc_lo, s12, v9
	v_add_nc_u32_e32 v12, 1, v8
	s_delay_alu instid0(VALU_DEP_1)
	v_cndmask_b32_e32 v12, v8, v12, vcc_lo
.LBB34_17:
	s_or_b32 exec_lo, exec_lo, s2
	s_delay_alu instid0(VALU_DEP_1) | instskip(SKIP_2) | instid1(VALU_DEP_2)
	v_mul_u64_e32 v[8:9], s[12:13], v[12:13]
	s_mov_b32 s2, exec_lo
	v_mov_b32_e32 v14, 0
	v_sub_nc_u64_e32 v[8:9], v[4:5], v[8:9]
                                        ; implicit-def: $vgpr4_vgpr5
	s_delay_alu instid0(VALU_DEP_1) | instskip(NEXT) | instid1(VALU_DEP_1)
	v_or_b32_e32 v15, s9, v9
	v_cmpx_ne_u64_e32 0, v[14:15]
	s_xor_b32 s3, exec_lo, s2
	s_cbranch_execz .LBB34_19
; %bb.18:
	s_ashr_i32 s12, s9, 31
	s_mov_b32 s27, 0
	s_mov_b32 s13, s12
	v_dual_mov_b32 v19, v14 :: v_dual_ashrrev_i32 v4, 31, v9
	s_add_nc_u64 s[14:15], s[8:9], s[12:13]
	v_mov_b32_e32 v21, v14
	s_xor_b64 s[14:15], s[14:15], s[12:13]
	s_delay_alu instid0(VALU_DEP_2)
	v_mov_b32_e32 v5, v4
	s_cvt_f32_u32 s2, s14
	s_cvt_f32_u32 s13, s15
	s_sub_nc_u64 s[22:23], 0, s[14:15]
	v_mov_b32_e32 v27, v14
	v_add_nc_u64_e32 v[16:17], v[8:9], v[4:5]
	s_fmamk_f32 s2, s13, 0x4f800000, s2
	v_mov_b32_e32 v15, v14
	s_delay_alu instid0(SALU_CYCLE_2) | instskip(NEXT) | instid1(VALU_DEP_2)
	v_s_rcp_f32 s2, s2
	v_xor_b32_e32 v18, v16, v4
	s_delay_alu instid0(VALU_DEP_3) | instskip(SKIP_1) | instid1(TRANS32_DEP_1)
	v_xor_b32_e32 v20, v17, v4
	v_xor_b32_e32 v4, s12, v4
	s_mul_f32 s2, s2, 0x5f7ffffc
	s_delay_alu instid0(SALU_CYCLE_3) | instskip(NEXT) | instid1(SALU_CYCLE_3)
	s_mul_f32 s13, s2, 0x2f800000
	s_trunc_f32 s13, s13
	s_delay_alu instid0(SALU_CYCLE_3) | instskip(SKIP_1) | instid1(SALU_CYCLE_2)
	s_fmamk_f32 s2, s13, 0xcf800000, s2
	s_cvt_u32_f32 s21, s13
	s_cvt_u32_f32 s20, s2
	s_delay_alu instid0(SALU_CYCLE_3) | instskip(NEXT) | instid1(SALU_CYCLE_1)
	s_mul_u64 s[24:25], s[22:23], s[20:21]
	s_mul_hi_u32 s29, s20, s25
	s_mul_i32 s28, s20, s25
	s_mul_hi_u32 s26, s20, s24
	s_mul_i32 s13, s21, s24
	s_add_nc_u64 s[28:29], s[26:27], s[28:29]
	s_mul_hi_u32 s2, s21, s24
	s_mul_hi_u32 s30, s21, s25
	s_add_co_u32 s13, s28, s13
	s_add_co_ci_u32 s26, s29, s2
	s_mul_i32 s24, s21, s25
	s_add_co_ci_u32 s25, s30, 0
	s_delay_alu instid0(SALU_CYCLE_1) | instskip(NEXT) | instid1(SALU_CYCLE_1)
	s_add_nc_u64 s[24:25], s[26:27], s[24:25]
	s_add_co_u32 s20, s20, s24
	s_cselect_b32 s2, -1, 0
	s_delay_alu instid0(SALU_CYCLE_1) | instskip(SKIP_1) | instid1(SALU_CYCLE_1)
	s_cmp_lg_u32 s2, 0
	s_add_co_ci_u32 s21, s21, s25
	s_mul_u64 s[22:23], s[22:23], s[20:21]
	s_delay_alu instid0(SALU_CYCLE_1)
	s_mul_hi_u32 s25, s20, s23
	s_mul_i32 s24, s20, s23
	s_mul_hi_u32 s26, s20, s22
	s_mul_i32 s13, s21, s22
	s_add_nc_u64 s[24:25], s[26:27], s[24:25]
	s_mul_hi_u32 s2, s21, s22
	s_mul_hi_u32 s28, s21, s23
	s_add_co_u32 s13, s24, s13
	s_add_co_ci_u32 s26, s25, s2
	s_mul_i32 s22, s21, s23
	s_add_co_ci_u32 s23, s28, 0
	s_delay_alu instid0(SALU_CYCLE_1) | instskip(NEXT) | instid1(SALU_CYCLE_1)
	s_add_nc_u64 s[22:23], s[26:27], s[22:23]
	s_add_co_u32 s2, s20, s22
	s_cselect_b32 s13, -1, 0
	v_mul_hi_u32 v26, v18, s2
	s_cmp_lg_u32 s13, 0
	s_add_co_ci_u32 s26, s21, s23
	s_mov_b64 s[20:21], 0xffffffff
	v_mul_u64_e32 v[22:23], s[26:27], v[18:19]
	s_and_b64 s[20:21], s[2:3], s[20:21]
	v_mul_u64_e32 v[24:25], s[26:27], v[20:21]
	v_mul_u64_e32 v[16:17], s[20:21], v[20:21]
	s_delay_alu instid0(VALU_DEP_3) | instskip(NEXT) | instid1(VALU_DEP_1)
	v_add_nc_u64_e32 v[22:23], v[26:27], v[22:23]
	v_add_co_u32 v5, vcc_lo, v22, v16
	s_delay_alu instid0(VALU_DEP_2) | instskip(SKIP_1) | instid1(VALU_DEP_1)
	v_add_co_ci_u32_e32 v14, vcc_lo, v23, v17, vcc_lo
	v_add_co_ci_u32_e32 v25, vcc_lo, 0, v25, vcc_lo
	v_add_nc_u64_e32 v[14:15], v[14:15], v[24:25]
	s_delay_alu instid0(VALU_DEP_1) | instskip(NEXT) | instid1(VALU_DEP_1)
	v_mul_u64_e32 v[16:17], s[14:15], v[14:15]
	v_sub_nc_u32_e32 v5, v20, v17
	s_delay_alu instid0(VALU_DEP_2) | instskip(NEXT) | instid1(VALU_DEP_1)
	v_sub_co_u32 v16, vcc_lo, v18, v16
	v_sub_co_ci_u32_e64 v20, null, v20, v17, vcc_lo
	s_delay_alu instid0(VALU_DEP_3) | instskip(NEXT) | instid1(VALU_DEP_3)
	v_subrev_co_ci_u32_e64 v5, null, s15, v5, vcc_lo
	v_sub_co_u32 v18, s2, v16, s14
	s_delay_alu instid0(VALU_DEP_1) | instskip(NEXT) | instid1(VALU_DEP_2)
	v_subrev_co_ci_u32_e64 v5, null, 0, v5, s2
	v_cmp_le_u32_e32 vcc_lo, s14, v18
	v_cndmask_b32_e64 v17, 0, -1, vcc_lo
	s_delay_alu instid0(VALU_DEP_3)
	v_cmp_le_u32_e32 vcc_lo, s15, v5
	v_cndmask_b32_e64 v18, 0, -1, vcc_lo
	v_cmp_le_u32_e32 vcc_lo, s14, v16
	v_cndmask_b32_e64 v21, 0, -1, vcc_lo
	;; [unrolled: 2-line block ×3, first 2 shown]
	v_cmp_eq_u32_e32 vcc_lo, s15, v5
	v_cndmask_b32_e32 v5, v18, v17, vcc_lo
	v_cmp_eq_u32_e32 vcc_lo, s15, v20
	v_add_nc_u64_e32 v[16:17], 2, v[14:15]
	v_add_nc_u64_e32 v[18:19], 1, v[14:15]
	v_cndmask_b32_e32 v20, v22, v21, vcc_lo
	v_cmp_ne_u32_e32 vcc_lo, 0, v5
	s_delay_alu instid0(VALU_DEP_2) | instskip(NEXT) | instid1(VALU_DEP_4)
	v_cmp_ne_u32_e64 s2, 0, v20
	v_dual_cndmask_b32 v16, v18, v16 :: v_dual_cndmask_b32 v5, v19, v17
	s_delay_alu instid0(VALU_DEP_1) | instskip(NEXT) | instid1(VALU_DEP_1)
	v_dual_cndmask_b32 v14, v14, v16, s2 :: v_dual_cndmask_b32 v15, v15, v5, s2
	v_dual_mov_b32 v5, v4 :: v_dual_bitop2_b32 v14, v14, v4 bitop3:0x14
	s_delay_alu instid0(VALU_DEP_2) | instskip(NEXT) | instid1(VALU_DEP_1)
	v_xor_b32_e32 v15, v15, v4
	v_sub_nc_u64_e32 v[4:5], v[14:15], v[4:5]
.LBB34_19:
	s_and_not1_saveexec_b32 s2, s3
	s_cbranch_execz .LBB34_21
; %bb.20:
	v_cvt_f32_u32_e32 v4, s8
	s_sub_co_i32 s3, 0, s8
	s_delay_alu instid0(VALU_DEP_1) | instskip(SKIP_1) | instid1(TRANS32_DEP_1)
	v_rcp_iflag_f32_e32 v4, v4
	v_nop
	v_mul_f32_e32 v4, 0x4f7ffffe, v4
	s_delay_alu instid0(VALU_DEP_1) | instskip(NEXT) | instid1(VALU_DEP_1)
	v_cvt_u32_f32_e32 v4, v4
	v_mul_lo_u32 v5, s3, v4
	s_delay_alu instid0(VALU_DEP_1) | instskip(NEXT) | instid1(VALU_DEP_1)
	v_mul_hi_u32 v5, v4, v5
	v_add_nc_u32_e32 v4, v4, v5
	s_delay_alu instid0(VALU_DEP_1) | instskip(NEXT) | instid1(VALU_DEP_1)
	v_mul_hi_u32 v4, v8, v4
	v_mul_lo_u32 v5, v4, s8
	s_delay_alu instid0(VALU_DEP_1) | instskip(NEXT) | instid1(VALU_DEP_1)
	v_dual_add_nc_u32 v14, 1, v4 :: v_dual_sub_nc_u32 v5, v8, v5
	v_subrev_nc_u32_e32 v15, s8, v5
	v_cmp_le_u32_e32 vcc_lo, s8, v5
	s_delay_alu instid0(VALU_DEP_2) | instskip(NEXT) | instid1(VALU_DEP_1)
	v_dual_cndmask_b32 v5, v5, v15 :: v_dual_cndmask_b32 v4, v4, v14
	v_cmp_le_u32_e32 vcc_lo, s8, v5
	s_delay_alu instid0(VALU_DEP_2) | instskip(NEXT) | instid1(VALU_DEP_1)
	v_dual_mov_b32 v5, 0 :: v_dual_add_nc_u32 v14, 1, v4
	v_cndmask_b32_e32 v4, v4, v14, vcc_lo
.LBB34_21:
	s_or_b32 exec_lo, exec_lo, s2
	s_delay_alu instid0(VALU_DEP_1) | instskip(SKIP_1) | instid1(VALU_DEP_1)
	v_mul_u64_e32 v[14:15], s[8:9], v[4:5]
                                        ; implicit-def: $vgpr16_vgpr17
	s_mov_b32 s2, exec_lo
	v_sub_nc_u64_e32 v[8:9], v[8:9], v[14:15]
	s_delay_alu instid0(VALU_DEP_1) | instskip(NEXT) | instid1(VALU_DEP_1)
	v_dual_mov_b32 v14, 0 :: v_dual_bitop2_b32 v15, s41, v9 bitop3:0x54
	v_cmpx_ne_u64_e32 0, v[14:15]
	s_xor_b32 s3, exec_lo, s2
	s_cbranch_execz .LBB34_23
; %bb.22:
	s_ashr_i32 s8, s41, 31
	s_mov_b32 s25, 0
	s_mov_b32 s9, s8
	v_dual_mov_b32 v21, v14 :: v_dual_ashrrev_i32 v16, 31, v9
	s_add_nc_u64 s[12:13], s[40:41], s[8:9]
	v_dual_mov_b32 v29, v14 :: v_dual_mov_b32 v15, v14
	s_xor_b64 s[12:13], s[12:13], s[8:9]
	s_delay_alu instid0(VALU_DEP_2) | instskip(SKIP_3) | instid1(VALU_DEP_1)
	v_mov_b32_e32 v17, v16
	s_cvt_f32_u32 s2, s12
	s_cvt_f32_u32 s9, s13
	s_sub_nc_u64 s[20:21], 0, s[12:13]
	v_add_nc_u64_e32 v[18:19], v[8:9], v[16:17]
	s_delay_alu instid0(SALU_CYCLE_1) | instskip(SKIP_1) | instid1(SALU_CYCLE_2)
	s_fmamk_f32 s2, s9, 0x4f800000, s2
	v_mov_b32_e32 v23, v14
	v_s_rcp_f32 s2, s2
	s_delay_alu instid0(VALU_DEP_2) | instskip(NEXT) | instid1(VALU_DEP_3)
	v_xor_b32_e32 v20, v18, v16
	v_xor_b32_e32 v22, v19, v16
	;; [unrolled: 1-line block ×3, first 2 shown]
	s_delay_alu instid0(TRANS32_DEP_1) | instskip(NEXT) | instid1(SALU_CYCLE_3)
	s_mul_f32 s2, s2, 0x5f7ffffc
	s_mul_f32 s9, s2, 0x2f800000
	s_delay_alu instid0(SALU_CYCLE_3) | instskip(NEXT) | instid1(SALU_CYCLE_3)
	s_trunc_f32 s9, s9
	s_fmamk_f32 s2, s9, 0xcf800000, s2
	s_cvt_u32_f32 s15, s9
	s_delay_alu instid0(SALU_CYCLE_2) | instskip(NEXT) | instid1(SALU_CYCLE_3)
	s_cvt_u32_f32 s14, s2
	s_mul_u64 s[22:23], s[20:21], s[14:15]
	s_delay_alu instid0(SALU_CYCLE_1)
	s_mul_hi_u32 s27, s14, s23
	s_mul_i32 s26, s14, s23
	s_mul_hi_u32 s24, s14, s22
	s_mul_i32 s9, s15, s22
	s_add_nc_u64 s[26:27], s[24:25], s[26:27]
	s_mul_hi_u32 s2, s15, s22
	s_mul_hi_u32 s28, s15, s23
	s_add_co_u32 s9, s26, s9
	s_add_co_ci_u32 s24, s27, s2
	s_mul_i32 s22, s15, s23
	s_add_co_ci_u32 s23, s28, 0
	s_delay_alu instid0(SALU_CYCLE_1) | instskip(NEXT) | instid1(SALU_CYCLE_1)
	s_add_nc_u64 s[22:23], s[24:25], s[22:23]
	s_add_co_u32 s14, s14, s22
	s_cselect_b32 s2, -1, 0
	s_delay_alu instid0(SALU_CYCLE_1) | instskip(SKIP_1) | instid1(SALU_CYCLE_1)
	s_cmp_lg_u32 s2, 0
	s_add_co_ci_u32 s15, s15, s23
	s_mul_u64 s[20:21], s[20:21], s[14:15]
	s_delay_alu instid0(SALU_CYCLE_1)
	s_mul_hi_u32 s23, s14, s21
	s_mul_i32 s22, s14, s21
	s_mul_hi_u32 s24, s14, s20
	s_mul_i32 s9, s15, s20
	s_add_nc_u64 s[22:23], s[24:25], s[22:23]
	s_mul_hi_u32 s2, s15, s20
	s_mul_hi_u32 s26, s15, s21
	s_add_co_u32 s9, s22, s9
	s_add_co_ci_u32 s24, s23, s2
	s_mul_i32 s20, s15, s21
	s_add_co_ci_u32 s21, s26, 0
	s_delay_alu instid0(SALU_CYCLE_1) | instskip(NEXT) | instid1(SALU_CYCLE_1)
	s_add_nc_u64 s[20:21], s[24:25], s[20:21]
	s_add_co_u32 s2, s14, s20
	s_cselect_b32 s9, -1, 0
	v_mul_hi_u32 v28, v20, s2
	s_cmp_lg_u32 s9, 0
	s_add_co_ci_u32 s24, s15, s21
	s_mov_b64 s[14:15], 0xffffffff
	v_mul_u64_e32 v[24:25], s[24:25], v[20:21]
	s_and_b64 s[14:15], s[2:3], s[14:15]
	v_mul_u64_e32 v[26:27], s[24:25], v[22:23]
	v_mul_u64_e32 v[18:19], s[14:15], v[22:23]
	s_delay_alu instid0(VALU_DEP_3) | instskip(NEXT) | instid1(VALU_DEP_1)
	v_add_nc_u64_e32 v[24:25], v[28:29], v[24:25]
	v_add_co_u32 v14, vcc_lo, v24, v18
	s_delay_alu instid0(VALU_DEP_2) | instskip(SKIP_1) | instid1(VALU_DEP_1)
	v_add_co_ci_u32_e32 v14, vcc_lo, v25, v19, vcc_lo
	v_add_co_ci_u32_e32 v27, vcc_lo, 0, v27, vcc_lo
	v_add_nc_u64_e32 v[14:15], v[14:15], v[26:27]
	s_delay_alu instid0(VALU_DEP_1) | instskip(NEXT) | instid1(VALU_DEP_1)
	v_mul_u64_e32 v[18:19], s[12:13], v[14:15]
	v_sub_nc_u32_e32 v17, v22, v19
	s_delay_alu instid0(VALU_DEP_2) | instskip(NEXT) | instid1(VALU_DEP_1)
	v_sub_co_u32 v18, vcc_lo, v20, v18
	v_sub_co_ci_u32_e64 v22, null, v22, v19, vcc_lo
	s_delay_alu instid0(VALU_DEP_3) | instskip(NEXT) | instid1(VALU_DEP_3)
	v_subrev_co_ci_u32_e64 v17, null, s13, v17, vcc_lo
	v_sub_co_u32 v20, s2, v18, s12
	s_delay_alu instid0(VALU_DEP_1) | instskip(NEXT) | instid1(VALU_DEP_2)
	v_subrev_co_ci_u32_e64 v17, null, 0, v17, s2
	v_cmp_le_u32_e32 vcc_lo, s12, v20
	v_cndmask_b32_e64 v19, 0, -1, vcc_lo
	s_delay_alu instid0(VALU_DEP_3)
	v_cmp_le_u32_e32 vcc_lo, s13, v17
	v_cndmask_b32_e64 v20, 0, -1, vcc_lo
	v_cmp_le_u32_e32 vcc_lo, s12, v18
	v_cndmask_b32_e64 v23, 0, -1, vcc_lo
	v_cmp_le_u32_e32 vcc_lo, s13, v22
	v_cndmask_b32_e64 v24, 0, -1, vcc_lo
	v_cmp_eq_u32_e32 vcc_lo, s13, v17
	v_cndmask_b32_e32 v17, v20, v19, vcc_lo
	v_cmp_eq_u32_e32 vcc_lo, s13, v22
	v_add_nc_u64_e32 v[18:19], 2, v[14:15]
	v_add_nc_u64_e32 v[20:21], 1, v[14:15]
	v_cndmask_b32_e32 v22, v24, v23, vcc_lo
	v_cmp_ne_u32_e32 vcc_lo, 0, v17
	s_delay_alu instid0(VALU_DEP_2) | instskip(NEXT) | instid1(VALU_DEP_4)
	v_cmp_ne_u32_e64 s2, 0, v22
	v_dual_cndmask_b32 v18, v20, v18 :: v_dual_cndmask_b32 v17, v21, v19
	s_delay_alu instid0(VALU_DEP_1) | instskip(NEXT) | instid1(VALU_DEP_1)
	v_dual_cndmask_b32 v14, v14, v18, s2 :: v_dual_cndmask_b32 v15, v15, v17, s2
	v_dual_mov_b32 v17, v16 :: v_dual_bitop2_b32 v14, v14, v16 bitop3:0x14
	s_delay_alu instid0(VALU_DEP_2) | instskip(NEXT) | instid1(VALU_DEP_1)
	v_xor_b32_e32 v15, v15, v16
	v_sub_nc_u64_e32 v[16:17], v[14:15], v[16:17]
.LBB34_23:
	s_and_not1_saveexec_b32 s2, s3
	s_cbranch_execz .LBB34_25
; %bb.24:
	v_cvt_f32_u32_e32 v14, s40
	s_sub_co_i32 s3, 0, s40
	s_delay_alu instid0(VALU_DEP_1) | instskip(SKIP_1) | instid1(TRANS32_DEP_1)
	v_rcp_iflag_f32_e32 v14, v14
	v_nop
	v_mul_f32_e32 v14, 0x4f7ffffe, v14
	s_delay_alu instid0(VALU_DEP_1) | instskip(NEXT) | instid1(VALU_DEP_1)
	v_cvt_u32_f32_e32 v14, v14
	v_mul_lo_u32 v15, s3, v14
	s_delay_alu instid0(VALU_DEP_1) | instskip(NEXT) | instid1(VALU_DEP_1)
	v_mul_hi_u32 v15, v14, v15
	v_add_nc_u32_e32 v14, v14, v15
	s_delay_alu instid0(VALU_DEP_1) | instskip(NEXT) | instid1(VALU_DEP_1)
	v_mul_hi_u32 v14, v8, v14
	v_mul_lo_u32 v15, v14, s40
	s_delay_alu instid0(VALU_DEP_1) | instskip(NEXT) | instid1(VALU_DEP_1)
	v_dual_add_nc_u32 v16, 1, v14 :: v_dual_sub_nc_u32 v15, v8, v15
	v_subrev_nc_u32_e32 v17, s40, v15
	v_cmp_le_u32_e32 vcc_lo, s40, v15
	s_delay_alu instid0(VALU_DEP_2) | instskip(NEXT) | instid1(VALU_DEP_4)
	v_dual_cndmask_b32 v15, v15, v17, vcc_lo :: v_dual_mov_b32 v17, 0
	v_cndmask_b32_e32 v14, v14, v16, vcc_lo
	s_delay_alu instid0(VALU_DEP_2) | instskip(NEXT) | instid1(VALU_DEP_2)
	v_cmp_le_u32_e32 vcc_lo, s40, v15
	v_add_nc_u32_e32 v16, 1, v14
	s_delay_alu instid0(VALU_DEP_1)
	v_cndmask_b32_e32 v16, v14, v16, vcc_lo
.LBB34_25:
	s_or_b32 exec_lo, exec_lo, s2
	v_mul_u64_e32 v[14:15], s[10:11], v[10:11]
	s_load_b64 s[0:1], s[0:1], 0x80
	s_delay_alu instid0(VALU_DEP_1) | instskip(NEXT) | instid1(VALU_DEP_1)
	v_sub_nc_u64_e32 v[6:7], v[6:7], v[14:15]
	v_mad_nc_u64_u32 v[14:15], v6, s16, s[4:5]
	s_delay_alu instid0(VALU_DEP_1) | instskip(NEXT) | instid1(VALU_DEP_1)
	v_mad_u32 v7, v7, s16, v15
	v_mad_u32 v15, v6, s17, v7
	s_delay_alu instid0(VALU_DEP_1) | instskip(NEXT) | instid1(VALU_DEP_1)
	v_mad_nc_u64_u32 v[6:7], v10, s18, v[14:15]
	v_mad_u32 v7, v11, s18, v7
	s_delay_alu instid0(VALU_DEP_1) | instskip(NEXT) | instid1(VALU_DEP_1)
	v_mad_u32 v7, v10, s19, v7
	v_mad_nc_u64_u32 v[6:7], v2, s36, v[6:7]
	s_delay_alu instid0(VALU_DEP_1) | instskip(NEXT) | instid1(VALU_DEP_1)
	v_mad_u32 v3, v3, s36, v7
	v_mad_u32 v7, v2, s37, v3
	s_delay_alu instid0(VALU_DEP_1) | instskip(NEXT) | instid1(VALU_DEP_1)
	v_mad_nc_u64_u32 v[2:3], v0, s38, v[6:7]
	v_mad_u32 v1, v1, s38, v3
	s_delay_alu instid0(VALU_DEP_1) | instskip(SKIP_4) | instid1(VALU_DEP_1)
	v_mad_u32 v3, v0, s39, v1
	v_mul_u64_e32 v[0:1], s[40:41], v[16:17]
	global_load_b32 v6, v[2:3], off
	v_sub_nc_u64_e32 v[0:1], v[8:9], v[0:1]
	s_wait_xcnt 0x0
	v_mad_nc_u64_u32 v[2:3], v0, s46, s[6:7]
	s_delay_alu instid0(VALU_DEP_1) | instskip(NEXT) | instid1(VALU_DEP_1)
	v_mad_u32 v1, v1, s46, v3
	v_mad_u32 v3, v0, s47, v1
	s_delay_alu instid0(VALU_DEP_1) | instskip(NEXT) | instid1(VALU_DEP_1)
	v_mad_nc_u64_u32 v[0:1], v16, s48, v[2:3]
	v_mad_u32 v1, v17, s48, v1
	s_delay_alu instid0(VALU_DEP_1) | instskip(NEXT) | instid1(VALU_DEP_1)
	v_mad_u32 v1, v16, s49, v1
	v_mad_nc_u64_u32 v[0:1], v4, s50, v[0:1]
	s_delay_alu instid0(VALU_DEP_1) | instskip(NEXT) | instid1(VALU_DEP_1)
	v_mad_u32 v1, v5, s50, v1
	v_mad_u32 v1, v4, s51, v1
	s_wait_kmcnt 0x0
	s_delay_alu instid0(VALU_DEP_1) | instskip(NEXT) | instid1(VALU_DEP_1)
	v_mad_nc_u64_u32 v[0:1], v12, s0, v[0:1]
	v_mad_u32 v1, v13, s0, v1
	s_delay_alu instid0(VALU_DEP_1)
	v_mad_u32 v1, v12, s1, v1
	s_wait_loadcnt 0x0
	v_cvt_f32_i32_e32 v2, v6
	global_store_b32 v[0:1], v2, off
.LBB34_26:
	s_endpgm
	.section	.rodata,"a",@progbits
	.p2align	6, 0x0
	.amdhsa_kernel _ZL10cpy_scalarIXadL_ZL12cpy_1_scalarIifEvPKcPcEEEvS2_S3_lllllllllllllll
		.amdhsa_group_segment_fixed_size 0
		.amdhsa_private_segment_fixed_size 0
		.amdhsa_kernarg_size 392
		.amdhsa_user_sgpr_count 2
		.amdhsa_user_sgpr_dispatch_ptr 0
		.amdhsa_user_sgpr_queue_ptr 0
		.amdhsa_user_sgpr_kernarg_segment_ptr 1
		.amdhsa_user_sgpr_dispatch_id 0
		.amdhsa_user_sgpr_kernarg_preload_length 0
		.amdhsa_user_sgpr_kernarg_preload_offset 0
		.amdhsa_user_sgpr_private_segment_size 0
		.amdhsa_wavefront_size32 1
		.amdhsa_uses_dynamic_stack 0
		.amdhsa_enable_private_segment 0
		.amdhsa_system_sgpr_workgroup_id_x 1
		.amdhsa_system_sgpr_workgroup_id_y 0
		.amdhsa_system_sgpr_workgroup_id_z 0
		.amdhsa_system_sgpr_workgroup_info 0
		.amdhsa_system_vgpr_workitem_id 0
		.amdhsa_next_free_vgpr 30
		.amdhsa_next_free_sgpr 52
		.amdhsa_named_barrier_count 0
		.amdhsa_reserve_vcc 1
		.amdhsa_float_round_mode_32 0
		.amdhsa_float_round_mode_16_64 0
		.amdhsa_float_denorm_mode_32 3
		.amdhsa_float_denorm_mode_16_64 3
		.amdhsa_fp16_overflow 0
		.amdhsa_memory_ordered 1
		.amdhsa_forward_progress 1
		.amdhsa_inst_pref_size 40
		.amdhsa_round_robin_scheduling 0
		.amdhsa_exception_fp_ieee_invalid_op 0
		.amdhsa_exception_fp_denorm_src 0
		.amdhsa_exception_fp_ieee_div_zero 0
		.amdhsa_exception_fp_ieee_overflow 0
		.amdhsa_exception_fp_ieee_underflow 0
		.amdhsa_exception_fp_ieee_inexact 0
		.amdhsa_exception_int_div_zero 0
	.end_amdhsa_kernel
	.section	.text._ZL10cpy_scalarIXadL_ZL12cpy_1_scalarIifEvPKcPcEEEvS2_S3_lllllllllllllll,"axG",@progbits,_ZL10cpy_scalarIXadL_ZL12cpy_1_scalarIifEvPKcPcEEEvS2_S3_lllllllllllllll,comdat
.Lfunc_end34:
	.size	_ZL10cpy_scalarIXadL_ZL12cpy_1_scalarIifEvPKcPcEEEvS2_S3_lllllllllllllll, .Lfunc_end34-_ZL10cpy_scalarIXadL_ZL12cpy_1_scalarIifEvPKcPcEEEvS2_S3_lllllllllllllll
                                        ; -- End function
	.set _ZL10cpy_scalarIXadL_ZL12cpy_1_scalarIifEvPKcPcEEEvS2_S3_lllllllllllllll.num_vgpr, 30
	.set _ZL10cpy_scalarIXadL_ZL12cpy_1_scalarIifEvPKcPcEEEvS2_S3_lllllllllllllll.num_agpr, 0
	.set _ZL10cpy_scalarIXadL_ZL12cpy_1_scalarIifEvPKcPcEEEvS2_S3_lllllllllllllll.numbered_sgpr, 52
	.set _ZL10cpy_scalarIXadL_ZL12cpy_1_scalarIifEvPKcPcEEEvS2_S3_lllllllllllllll.num_named_barrier, 0
	.set _ZL10cpy_scalarIXadL_ZL12cpy_1_scalarIifEvPKcPcEEEvS2_S3_lllllllllllllll.private_seg_size, 0
	.set _ZL10cpy_scalarIXadL_ZL12cpy_1_scalarIifEvPKcPcEEEvS2_S3_lllllllllllllll.uses_vcc, 1
	.set _ZL10cpy_scalarIXadL_ZL12cpy_1_scalarIifEvPKcPcEEEvS2_S3_lllllllllllllll.uses_flat_scratch, 0
	.set _ZL10cpy_scalarIXadL_ZL12cpy_1_scalarIifEvPKcPcEEEvS2_S3_lllllllllllllll.has_dyn_sized_stack, 0
	.set _ZL10cpy_scalarIXadL_ZL12cpy_1_scalarIifEvPKcPcEEEvS2_S3_lllllllllllllll.has_recursion, 0
	.set _ZL10cpy_scalarIXadL_ZL12cpy_1_scalarIifEvPKcPcEEEvS2_S3_lllllllllllllll.has_indirect_call, 0
	.section	.AMDGPU.csdata,"",@progbits
; Kernel info:
; codeLenInByte = 5008
; TotalNumSgprs: 54
; NumVgprs: 30
; ScratchSize: 0
; MemoryBound: 0
; FloatMode: 240
; IeeeMode: 1
; LDSByteSize: 0 bytes/workgroup (compile time only)
; SGPRBlocks: 0
; VGPRBlocks: 1
; NumSGPRsForWavesPerEU: 54
; NumVGPRsForWavesPerEU: 30
; NamedBarCnt: 0
; Occupancy: 16
; WaveLimiterHint : 0
; COMPUTE_PGM_RSRC2:SCRATCH_EN: 0
; COMPUTE_PGM_RSRC2:USER_SGPR: 2
; COMPUTE_PGM_RSRC2:TRAP_HANDLER: 0
; COMPUTE_PGM_RSRC2:TGID_X_EN: 1
; COMPUTE_PGM_RSRC2:TGID_Y_EN: 0
; COMPUTE_PGM_RSRC2:TGID_Z_EN: 0
; COMPUTE_PGM_RSRC2:TIDIG_COMP_CNT: 0
	.section	.AMDGPU.gpr_maximums,"",@progbits
	.set amdgpu.max_num_vgpr, 0
	.set amdgpu.max_num_agpr, 0
	.set amdgpu.max_num_sgpr, 0
	.section	.AMDGPU.csdata,"",@progbits
	.type	_ZL13kvalues_iq4nl,@object      ; @_ZL13kvalues_iq4nl
	.section	.rodata.cst16,"aM",@progbits,16
	.p2align	4, 0x0
_ZL13kvalues_iq4nl:
	.ascii	"\201\230\255\277\317\335\352\366\001\r\031&5EYq"
	.size	_ZL13kvalues_iq4nl, 16

	.type	__hip_cuid_1da650a3c3c7329b,@object ; @__hip_cuid_1da650a3c3c7329b
	.section	.bss,"aw",@nobits
	.globl	__hip_cuid_1da650a3c3c7329b
__hip_cuid_1da650a3c3c7329b:
	.byte	0                               ; 0x0
	.size	__hip_cuid_1da650a3c3c7329b, 1

	.ident	"AMD clang version 22.0.0git (https://github.com/RadeonOpenCompute/llvm-project roc-7.2.4 26084 f58b06dce1f9c15707c5f808fd002e18c2accf7e)"
	.section	".note.GNU-stack","",@progbits
	.addrsig
	.addrsig_sym __hip_cuid_1da650a3c3c7329b
	.amdgpu_metadata
---
amdhsa.kernels:
  - .args:
      - .address_space:  global
        .offset:         0
        .size:           8
        .value_kind:     global_buffer
      - .address_space:  global
        .offset:         8
        .size:           8
        .value_kind:     global_buffer
      - .offset:         16
        .size:           8
        .value_kind:     by_value
      - .offset:         24
        .size:           8
        .value_kind:     by_value
      - .offset:         32
        .size:           8
        .value_kind:     by_value
      - .offset:         40
        .size:           8
        .value_kind:     by_value
      - .offset:         48
        .size:           8
        .value_kind:     by_value
      - .offset:         56
        .size:           8
        .value_kind:     by_value
      - .offset:         64
        .size:           8
        .value_kind:     by_value
      - .offset:         72
        .size:           8
        .value_kind:     by_value
      - .offset:         80
        .size:           8
        .value_kind:     by_value
      - .offset:         88
        .size:           8
        .value_kind:     by_value
      - .offset:         96
        .size:           8
        .value_kind:     by_value
      - .offset:         104
        .size:           8
        .value_kind:     by_value
      - .offset:         112
        .size:           8
        .value_kind:     by_value
      - .offset:         120
        .size:           8
        .value_kind:     by_value
      - .offset:         128
        .size:           8
        .value_kind:     by_value
      - .offset:         136
        .size:           4
        .value_kind:     hidden_block_count_x
      - .offset:         140
        .size:           4
        .value_kind:     hidden_block_count_y
      - .offset:         144
        .size:           4
        .value_kind:     hidden_block_count_z
      - .offset:         148
        .size:           2
        .value_kind:     hidden_group_size_x
      - .offset:         150
        .size:           2
        .value_kind:     hidden_group_size_y
      - .offset:         152
        .size:           2
        .value_kind:     hidden_group_size_z
      - .offset:         154
        .size:           2
        .value_kind:     hidden_remainder_x
      - .offset:         156
        .size:           2
        .value_kind:     hidden_remainder_y
      - .offset:         158
        .size:           2
        .value_kind:     hidden_remainder_z
      - .offset:         176
        .size:           8
        .value_kind:     hidden_global_offset_x
      - .offset:         184
        .size:           8
        .value_kind:     hidden_global_offset_y
      - .offset:         192
        .size:           8
        .value_kind:     hidden_global_offset_z
      - .offset:         200
        .size:           2
        .value_kind:     hidden_grid_dims
    .group_segment_fixed_size: 0
    .kernarg_segment_align: 8
    .kernarg_segment_size: 392
    .language:       OpenCL C
    .language_version:
      - 2
      - 0
    .max_flat_workgroup_size: 1024
    .name:           _ZL9cpy_f32_qIXadL_ZL17cpy_blck_f32_q8_0PKcPcEELi32EEvS1_S2_lllllllllllllll
    .private_segment_fixed_size: 0
    .sgpr_count:     54
    .sgpr_spill_count: 0
    .symbol:         _ZL9cpy_f32_qIXadL_ZL17cpy_blck_f32_q8_0PKcPcEELi32EEvS1_S2_lllllllllllllll.kd
    .uniform_work_group_size: 1
    .uses_dynamic_stack: false
    .vgpr_count:     40
    .vgpr_spill_count: 0
    .wavefront_size: 32
  - .args:
      - .address_space:  global
        .offset:         0
        .size:           8
        .value_kind:     global_buffer
      - .address_space:  global
        .offset:         8
        .size:           8
        .value_kind:     global_buffer
      - .offset:         16
        .size:           8
        .value_kind:     by_value
      - .offset:         24
        .size:           8
        .value_kind:     by_value
      - .offset:         32
        .size:           8
        .value_kind:     by_value
      - .offset:         40
        .size:           8
        .value_kind:     by_value
      - .offset:         48
        .size:           8
        .value_kind:     by_value
      - .offset:         56
        .size:           8
        .value_kind:     by_value
      - .offset:         64
        .size:           8
        .value_kind:     by_value
      - .offset:         72
        .size:           8
        .value_kind:     by_value
      - .offset:         80
        .size:           8
        .value_kind:     by_value
      - .offset:         88
        .size:           8
        .value_kind:     by_value
      - .offset:         96
        .size:           8
        .value_kind:     by_value
      - .offset:         104
        .size:           8
        .value_kind:     by_value
      - .offset:         112
        .size:           8
        .value_kind:     by_value
      - .offset:         120
        .size:           8
        .value_kind:     by_value
      - .offset:         128
        .size:           8
        .value_kind:     by_value
      - .offset:         136
        .size:           4
        .value_kind:     hidden_block_count_x
      - .offset:         140
        .size:           4
        .value_kind:     hidden_block_count_y
      - .offset:         144
        .size:           4
        .value_kind:     hidden_block_count_z
      - .offset:         148
        .size:           2
        .value_kind:     hidden_group_size_x
      - .offset:         150
        .size:           2
        .value_kind:     hidden_group_size_y
      - .offset:         152
        .size:           2
        .value_kind:     hidden_group_size_z
      - .offset:         154
        .size:           2
        .value_kind:     hidden_remainder_x
      - .offset:         156
        .size:           2
        .value_kind:     hidden_remainder_y
      - .offset:         158
        .size:           2
        .value_kind:     hidden_remainder_z
      - .offset:         176
        .size:           8
        .value_kind:     hidden_global_offset_x
      - .offset:         184
        .size:           8
        .value_kind:     hidden_global_offset_y
      - .offset:         192
        .size:           8
        .value_kind:     hidden_global_offset_z
      - .offset:         200
        .size:           2
        .value_kind:     hidden_grid_dims
    .group_segment_fixed_size: 0
    .kernarg_segment_align: 8
    .kernarg_segment_size: 392
    .language:       OpenCL C
    .language_version:
      - 2
      - 0
    .max_flat_workgroup_size: 1024
    .name:           _ZL9cpy_q_f32IXadL_ZL17cpy_blck_q8_0_f32PKcPcEELi32EEvS1_S2_lllllllllllllll
    .private_segment_fixed_size: 0
    .sgpr_count:     54
    .sgpr_spill_count: 0
    .symbol:         _ZL9cpy_q_f32IXadL_ZL17cpy_blck_q8_0_f32PKcPcEELi32EEvS1_S2_lllllllllllllll.kd
    .uniform_work_group_size: 1
    .uses_dynamic_stack: false
    .vgpr_count:     30
    .vgpr_spill_count: 0
    .wavefront_size: 32
  - .args:
      - .address_space:  global
        .offset:         0
        .size:           8
        .value_kind:     global_buffer
      - .address_space:  global
        .offset:         8
        .size:           8
        .value_kind:     global_buffer
      - .offset:         16
        .size:           8
        .value_kind:     by_value
      - .offset:         24
        .size:           8
        .value_kind:     by_value
      - .offset:         32
        .size:           8
        .value_kind:     by_value
      - .offset:         40
        .size:           8
        .value_kind:     by_value
      - .offset:         48
        .size:           8
        .value_kind:     by_value
      - .offset:         56
        .size:           8
        .value_kind:     by_value
      - .offset:         64
        .size:           8
        .value_kind:     by_value
      - .offset:         72
        .size:           8
        .value_kind:     by_value
      - .offset:         80
        .size:           8
        .value_kind:     by_value
      - .offset:         88
        .size:           8
        .value_kind:     by_value
      - .offset:         96
        .size:           8
        .value_kind:     by_value
      - .offset:         104
        .size:           8
        .value_kind:     by_value
      - .offset:         112
        .size:           8
        .value_kind:     by_value
      - .offset:         120
        .size:           8
        .value_kind:     by_value
      - .offset:         128
        .size:           8
        .value_kind:     by_value
      - .offset:         136
        .size:           4
        .value_kind:     hidden_block_count_x
      - .offset:         140
        .size:           4
        .value_kind:     hidden_block_count_y
      - .offset:         144
        .size:           4
        .value_kind:     hidden_block_count_z
      - .offset:         148
        .size:           2
        .value_kind:     hidden_group_size_x
      - .offset:         150
        .size:           2
        .value_kind:     hidden_group_size_y
      - .offset:         152
        .size:           2
        .value_kind:     hidden_group_size_z
      - .offset:         154
        .size:           2
        .value_kind:     hidden_remainder_x
      - .offset:         156
        .size:           2
        .value_kind:     hidden_remainder_y
      - .offset:         158
        .size:           2
        .value_kind:     hidden_remainder_z
      - .offset:         176
        .size:           8
        .value_kind:     hidden_global_offset_x
      - .offset:         184
        .size:           8
        .value_kind:     hidden_global_offset_y
      - .offset:         192
        .size:           8
        .value_kind:     hidden_global_offset_z
      - .offset:         200
        .size:           2
        .value_kind:     hidden_grid_dims
    .group_segment_fixed_size: 0
    .kernarg_segment_align: 8
    .kernarg_segment_size: 392
    .language:       OpenCL C
    .language_version:
      - 2
      - 0
    .max_flat_workgroup_size: 1024
    .name:           _ZL9cpy_f32_qIXadL_ZL17cpy_blck_f32_q4_0PKcPcEELi32EEvS1_S2_lllllllllllllll
    .private_segment_fixed_size: 0
    .sgpr_count:     54
    .sgpr_spill_count: 0
    .symbol:         _ZL9cpy_f32_qIXadL_ZL17cpy_blck_f32_q4_0PKcPcEELi32EEvS1_S2_lllllllllllllll.kd
    .uniform_work_group_size: 1
    .uses_dynamic_stack: false
    .vgpr_count:     61
    .vgpr_spill_count: 0
    .wavefront_size: 32
  - .args:
      - .address_space:  global
        .offset:         0
        .size:           8
        .value_kind:     global_buffer
      - .address_space:  global
        .offset:         8
        .size:           8
        .value_kind:     global_buffer
      - .offset:         16
        .size:           8
        .value_kind:     by_value
      - .offset:         24
        .size:           8
        .value_kind:     by_value
      - .offset:         32
        .size:           8
        .value_kind:     by_value
      - .offset:         40
        .size:           8
        .value_kind:     by_value
      - .offset:         48
        .size:           8
        .value_kind:     by_value
      - .offset:         56
        .size:           8
        .value_kind:     by_value
      - .offset:         64
        .size:           8
        .value_kind:     by_value
      - .offset:         72
        .size:           8
        .value_kind:     by_value
      - .offset:         80
        .size:           8
        .value_kind:     by_value
      - .offset:         88
        .size:           8
        .value_kind:     by_value
      - .offset:         96
        .size:           8
        .value_kind:     by_value
      - .offset:         104
        .size:           8
        .value_kind:     by_value
      - .offset:         112
        .size:           8
        .value_kind:     by_value
      - .offset:         120
        .size:           8
        .value_kind:     by_value
      - .offset:         128
        .size:           8
        .value_kind:     by_value
      - .offset:         136
        .size:           4
        .value_kind:     hidden_block_count_x
      - .offset:         140
        .size:           4
        .value_kind:     hidden_block_count_y
      - .offset:         144
        .size:           4
        .value_kind:     hidden_block_count_z
      - .offset:         148
        .size:           2
        .value_kind:     hidden_group_size_x
      - .offset:         150
        .size:           2
        .value_kind:     hidden_group_size_y
      - .offset:         152
        .size:           2
        .value_kind:     hidden_group_size_z
      - .offset:         154
        .size:           2
        .value_kind:     hidden_remainder_x
      - .offset:         156
        .size:           2
        .value_kind:     hidden_remainder_y
      - .offset:         158
        .size:           2
        .value_kind:     hidden_remainder_z
      - .offset:         176
        .size:           8
        .value_kind:     hidden_global_offset_x
      - .offset:         184
        .size:           8
        .value_kind:     hidden_global_offset_y
      - .offset:         192
        .size:           8
        .value_kind:     hidden_global_offset_z
      - .offset:         200
        .size:           2
        .value_kind:     hidden_grid_dims
    .group_segment_fixed_size: 0
    .kernarg_segment_align: 8
    .kernarg_segment_size: 392
    .language:       OpenCL C
    .language_version:
      - 2
      - 0
    .max_flat_workgroup_size: 1024
    .name:           _ZL9cpy_q_f32IXadL_ZL14cpy_blck_q_f32IXadL_ZL15dequantize_q4_0PKvliR15HIP_vector_typeIfLj2EEEELi32EEvPKcPcEELi32EEvS7_S8_lllllllllllllll
    .private_segment_fixed_size: 0
    .sgpr_count:     54
    .sgpr_spill_count: 0
    .symbol:         _ZL9cpy_q_f32IXadL_ZL14cpy_blck_q_f32IXadL_ZL15dequantize_q4_0PKvliR15HIP_vector_typeIfLj2EEEELi32EEvPKcPcEELi32EEvS7_S8_lllllllllllllll.kd
    .uniform_work_group_size: 1
    .uses_dynamic_stack: false
    .vgpr_count:     30
    .vgpr_spill_count: 0
    .wavefront_size: 32
  - .args:
      - .address_space:  global
        .offset:         0
        .size:           8
        .value_kind:     global_buffer
      - .address_space:  global
        .offset:         8
        .size:           8
        .value_kind:     global_buffer
      - .offset:         16
        .size:           8
        .value_kind:     by_value
      - .offset:         24
        .size:           8
        .value_kind:     by_value
      - .offset:         32
        .size:           8
        .value_kind:     by_value
      - .offset:         40
        .size:           8
        .value_kind:     by_value
      - .offset:         48
        .size:           8
        .value_kind:     by_value
      - .offset:         56
        .size:           8
        .value_kind:     by_value
      - .offset:         64
        .size:           8
        .value_kind:     by_value
      - .offset:         72
        .size:           8
        .value_kind:     by_value
      - .offset:         80
        .size:           8
        .value_kind:     by_value
      - .offset:         88
        .size:           8
        .value_kind:     by_value
      - .offset:         96
        .size:           8
        .value_kind:     by_value
      - .offset:         104
        .size:           8
        .value_kind:     by_value
      - .offset:         112
        .size:           8
        .value_kind:     by_value
      - .offset:         120
        .size:           8
        .value_kind:     by_value
      - .offset:         128
        .size:           8
        .value_kind:     by_value
      - .offset:         136
        .size:           4
        .value_kind:     hidden_block_count_x
      - .offset:         140
        .size:           4
        .value_kind:     hidden_block_count_y
      - .offset:         144
        .size:           4
        .value_kind:     hidden_block_count_z
      - .offset:         148
        .size:           2
        .value_kind:     hidden_group_size_x
      - .offset:         150
        .size:           2
        .value_kind:     hidden_group_size_y
      - .offset:         152
        .size:           2
        .value_kind:     hidden_group_size_z
      - .offset:         154
        .size:           2
        .value_kind:     hidden_remainder_x
      - .offset:         156
        .size:           2
        .value_kind:     hidden_remainder_y
      - .offset:         158
        .size:           2
        .value_kind:     hidden_remainder_z
      - .offset:         176
        .size:           8
        .value_kind:     hidden_global_offset_x
      - .offset:         184
        .size:           8
        .value_kind:     hidden_global_offset_y
      - .offset:         192
        .size:           8
        .value_kind:     hidden_global_offset_z
      - .offset:         200
        .size:           2
        .value_kind:     hidden_grid_dims
    .group_segment_fixed_size: 0
    .kernarg_segment_align: 8
    .kernarg_segment_size: 392
    .language:       OpenCL C
    .language_version:
      - 2
      - 0
    .max_flat_workgroup_size: 1024
    .name:           _ZL9cpy_f32_qIXadL_ZL17cpy_blck_f32_q4_1PKcPcEELi32EEvS1_S2_lllllllllllllll
    .private_segment_fixed_size: 0
    .sgpr_count:     54
    .sgpr_spill_count: 0
    .symbol:         _ZL9cpy_f32_qIXadL_ZL17cpy_blck_f32_q4_1PKcPcEELi32EEvS1_S2_lllllllllllllll.kd
    .uniform_work_group_size: 1
    .uses_dynamic_stack: false
    .vgpr_count:     61
    .vgpr_spill_count: 0
    .wavefront_size: 32
  - .args:
      - .address_space:  global
        .offset:         0
        .size:           8
        .value_kind:     global_buffer
      - .address_space:  global
        .offset:         8
        .size:           8
        .value_kind:     global_buffer
      - .offset:         16
        .size:           8
        .value_kind:     by_value
      - .offset:         24
        .size:           8
        .value_kind:     by_value
      - .offset:         32
        .size:           8
        .value_kind:     by_value
      - .offset:         40
        .size:           8
        .value_kind:     by_value
      - .offset:         48
        .size:           8
        .value_kind:     by_value
      - .offset:         56
        .size:           8
        .value_kind:     by_value
      - .offset:         64
        .size:           8
        .value_kind:     by_value
      - .offset:         72
        .size:           8
        .value_kind:     by_value
      - .offset:         80
        .size:           8
        .value_kind:     by_value
      - .offset:         88
        .size:           8
        .value_kind:     by_value
      - .offset:         96
        .size:           8
        .value_kind:     by_value
      - .offset:         104
        .size:           8
        .value_kind:     by_value
      - .offset:         112
        .size:           8
        .value_kind:     by_value
      - .offset:         120
        .size:           8
        .value_kind:     by_value
      - .offset:         128
        .size:           8
        .value_kind:     by_value
      - .offset:         136
        .size:           4
        .value_kind:     hidden_block_count_x
      - .offset:         140
        .size:           4
        .value_kind:     hidden_block_count_y
      - .offset:         144
        .size:           4
        .value_kind:     hidden_block_count_z
      - .offset:         148
        .size:           2
        .value_kind:     hidden_group_size_x
      - .offset:         150
        .size:           2
        .value_kind:     hidden_group_size_y
      - .offset:         152
        .size:           2
        .value_kind:     hidden_group_size_z
      - .offset:         154
        .size:           2
        .value_kind:     hidden_remainder_x
      - .offset:         156
        .size:           2
        .value_kind:     hidden_remainder_y
      - .offset:         158
        .size:           2
        .value_kind:     hidden_remainder_z
      - .offset:         176
        .size:           8
        .value_kind:     hidden_global_offset_x
      - .offset:         184
        .size:           8
        .value_kind:     hidden_global_offset_y
      - .offset:         192
        .size:           8
        .value_kind:     hidden_global_offset_z
      - .offset:         200
        .size:           2
        .value_kind:     hidden_grid_dims
    .group_segment_fixed_size: 0
    .kernarg_segment_align: 8
    .kernarg_segment_size: 392
    .language:       OpenCL C
    .language_version:
      - 2
      - 0
    .max_flat_workgroup_size: 1024
    .name:           _ZL9cpy_q_f32IXadL_ZL14cpy_blck_q_f32IXadL_ZL15dequantize_q4_1PKvliR15HIP_vector_typeIfLj2EEEELi32EEvPKcPcEELi32EEvS7_S8_lllllllllllllll
    .private_segment_fixed_size: 0
    .sgpr_count:     54
    .sgpr_spill_count: 0
    .symbol:         _ZL9cpy_q_f32IXadL_ZL14cpy_blck_q_f32IXadL_ZL15dequantize_q4_1PKvliR15HIP_vector_typeIfLj2EEEELi32EEvPKcPcEELi32EEvS7_S8_lllllllllllllll.kd
    .uniform_work_group_size: 1
    .uses_dynamic_stack: false
    .vgpr_count:     30
    .vgpr_spill_count: 0
    .wavefront_size: 32
  - .args:
      - .address_space:  global
        .offset:         0
        .size:           8
        .value_kind:     global_buffer
      - .address_space:  global
        .offset:         8
        .size:           8
        .value_kind:     global_buffer
      - .offset:         16
        .size:           8
        .value_kind:     by_value
      - .offset:         24
        .size:           8
        .value_kind:     by_value
      - .offset:         32
        .size:           8
        .value_kind:     by_value
      - .offset:         40
        .size:           8
        .value_kind:     by_value
      - .offset:         48
        .size:           8
        .value_kind:     by_value
      - .offset:         56
        .size:           8
        .value_kind:     by_value
      - .offset:         64
        .size:           8
        .value_kind:     by_value
      - .offset:         72
        .size:           8
        .value_kind:     by_value
      - .offset:         80
        .size:           8
        .value_kind:     by_value
      - .offset:         88
        .size:           8
        .value_kind:     by_value
      - .offset:         96
        .size:           8
        .value_kind:     by_value
      - .offset:         104
        .size:           8
        .value_kind:     by_value
      - .offset:         112
        .size:           8
        .value_kind:     by_value
      - .offset:         120
        .size:           8
        .value_kind:     by_value
      - .offset:         128
        .size:           8
        .value_kind:     by_value
      - .offset:         136
        .size:           4
        .value_kind:     hidden_block_count_x
      - .offset:         140
        .size:           4
        .value_kind:     hidden_block_count_y
      - .offset:         144
        .size:           4
        .value_kind:     hidden_block_count_z
      - .offset:         148
        .size:           2
        .value_kind:     hidden_group_size_x
      - .offset:         150
        .size:           2
        .value_kind:     hidden_group_size_y
      - .offset:         152
        .size:           2
        .value_kind:     hidden_group_size_z
      - .offset:         154
        .size:           2
        .value_kind:     hidden_remainder_x
      - .offset:         156
        .size:           2
        .value_kind:     hidden_remainder_y
      - .offset:         158
        .size:           2
        .value_kind:     hidden_remainder_z
      - .offset:         176
        .size:           8
        .value_kind:     hidden_global_offset_x
      - .offset:         184
        .size:           8
        .value_kind:     hidden_global_offset_y
      - .offset:         192
        .size:           8
        .value_kind:     hidden_global_offset_z
      - .offset:         200
        .size:           2
        .value_kind:     hidden_grid_dims
    .group_segment_fixed_size: 0
    .kernarg_segment_align: 8
    .kernarg_segment_size: 392
    .language:       OpenCL C
    .language_version:
      - 2
      - 0
    .max_flat_workgroup_size: 1024
    .name:           _ZL9cpy_f32_qIXadL_ZL17cpy_blck_f32_q5_0PKcPcEELi32EEvS1_S2_lllllllllllllll
    .private_segment_fixed_size: 0
    .sgpr_count:     54
    .sgpr_spill_count: 0
    .symbol:         _ZL9cpy_f32_qIXadL_ZL17cpy_blck_f32_q5_0PKcPcEELi32EEvS1_S2_lllllllllllllll.kd
    .uniform_work_group_size: 1
    .uses_dynamic_stack: false
    .vgpr_count:     54
    .vgpr_spill_count: 0
    .wavefront_size: 32
  - .args:
      - .address_space:  global
        .offset:         0
        .size:           8
        .value_kind:     global_buffer
      - .address_space:  global
        .offset:         8
        .size:           8
        .value_kind:     global_buffer
      - .offset:         16
        .size:           8
        .value_kind:     by_value
      - .offset:         24
        .size:           8
        .value_kind:     by_value
      - .offset:         32
        .size:           8
        .value_kind:     by_value
      - .offset:         40
        .size:           8
        .value_kind:     by_value
      - .offset:         48
        .size:           8
        .value_kind:     by_value
      - .offset:         56
        .size:           8
        .value_kind:     by_value
      - .offset:         64
        .size:           8
        .value_kind:     by_value
      - .offset:         72
        .size:           8
        .value_kind:     by_value
      - .offset:         80
        .size:           8
        .value_kind:     by_value
      - .offset:         88
        .size:           8
        .value_kind:     by_value
      - .offset:         96
        .size:           8
        .value_kind:     by_value
      - .offset:         104
        .size:           8
        .value_kind:     by_value
      - .offset:         112
        .size:           8
        .value_kind:     by_value
      - .offset:         120
        .size:           8
        .value_kind:     by_value
      - .offset:         128
        .size:           8
        .value_kind:     by_value
      - .offset:         136
        .size:           4
        .value_kind:     hidden_block_count_x
      - .offset:         140
        .size:           4
        .value_kind:     hidden_block_count_y
      - .offset:         144
        .size:           4
        .value_kind:     hidden_block_count_z
      - .offset:         148
        .size:           2
        .value_kind:     hidden_group_size_x
      - .offset:         150
        .size:           2
        .value_kind:     hidden_group_size_y
      - .offset:         152
        .size:           2
        .value_kind:     hidden_group_size_z
      - .offset:         154
        .size:           2
        .value_kind:     hidden_remainder_x
      - .offset:         156
        .size:           2
        .value_kind:     hidden_remainder_y
      - .offset:         158
        .size:           2
        .value_kind:     hidden_remainder_z
      - .offset:         176
        .size:           8
        .value_kind:     hidden_global_offset_x
      - .offset:         184
        .size:           8
        .value_kind:     hidden_global_offset_y
      - .offset:         192
        .size:           8
        .value_kind:     hidden_global_offset_z
      - .offset:         200
        .size:           2
        .value_kind:     hidden_grid_dims
    .group_segment_fixed_size: 0
    .kernarg_segment_align: 8
    .kernarg_segment_size: 392
    .language:       OpenCL C
    .language_version:
      - 2
      - 0
    .max_flat_workgroup_size: 1024
    .name:           _ZL9cpy_q_f32IXadL_ZL14cpy_blck_q_f32IXadL_ZL15dequantize_q5_0PKvliR15HIP_vector_typeIfLj2EEEELi32EEvPKcPcEELi32EEvS7_S8_lllllllllllllll
    .private_segment_fixed_size: 0
    .sgpr_count:     54
    .sgpr_spill_count: 0
    .symbol:         _ZL9cpy_q_f32IXadL_ZL14cpy_blck_q_f32IXadL_ZL15dequantize_q5_0PKvliR15HIP_vector_typeIfLj2EEEELi32EEvPKcPcEELi32EEvS7_S8_lllllllllllllll.kd
    .uniform_work_group_size: 1
    .uses_dynamic_stack: false
    .vgpr_count:     30
    .vgpr_spill_count: 0
    .wavefront_size: 32
  - .args:
      - .address_space:  global
        .offset:         0
        .size:           8
        .value_kind:     global_buffer
      - .address_space:  global
        .offset:         8
        .size:           8
        .value_kind:     global_buffer
      - .offset:         16
        .size:           8
        .value_kind:     by_value
      - .offset:         24
        .size:           8
        .value_kind:     by_value
      - .offset:         32
        .size:           8
        .value_kind:     by_value
      - .offset:         40
        .size:           8
        .value_kind:     by_value
      - .offset:         48
        .size:           8
        .value_kind:     by_value
      - .offset:         56
        .size:           8
        .value_kind:     by_value
      - .offset:         64
        .size:           8
        .value_kind:     by_value
      - .offset:         72
        .size:           8
        .value_kind:     by_value
      - .offset:         80
        .size:           8
        .value_kind:     by_value
      - .offset:         88
        .size:           8
        .value_kind:     by_value
      - .offset:         96
        .size:           8
        .value_kind:     by_value
      - .offset:         104
        .size:           8
        .value_kind:     by_value
      - .offset:         112
        .size:           8
        .value_kind:     by_value
      - .offset:         120
        .size:           8
        .value_kind:     by_value
      - .offset:         128
        .size:           8
        .value_kind:     by_value
      - .offset:         136
        .size:           4
        .value_kind:     hidden_block_count_x
      - .offset:         140
        .size:           4
        .value_kind:     hidden_block_count_y
      - .offset:         144
        .size:           4
        .value_kind:     hidden_block_count_z
      - .offset:         148
        .size:           2
        .value_kind:     hidden_group_size_x
      - .offset:         150
        .size:           2
        .value_kind:     hidden_group_size_y
      - .offset:         152
        .size:           2
        .value_kind:     hidden_group_size_z
      - .offset:         154
        .size:           2
        .value_kind:     hidden_remainder_x
      - .offset:         156
        .size:           2
        .value_kind:     hidden_remainder_y
      - .offset:         158
        .size:           2
        .value_kind:     hidden_remainder_z
      - .offset:         176
        .size:           8
        .value_kind:     hidden_global_offset_x
      - .offset:         184
        .size:           8
        .value_kind:     hidden_global_offset_y
      - .offset:         192
        .size:           8
        .value_kind:     hidden_global_offset_z
      - .offset:         200
        .size:           2
        .value_kind:     hidden_grid_dims
    .group_segment_fixed_size: 0
    .kernarg_segment_align: 8
    .kernarg_segment_size: 392
    .language:       OpenCL C
    .language_version:
      - 2
      - 0
    .max_flat_workgroup_size: 1024
    .name:           _ZL9cpy_f32_qIXadL_ZL17cpy_blck_f32_q5_1PKcPcEELi32EEvS1_S2_lllllllllllllll
    .private_segment_fixed_size: 0
    .sgpr_count:     54
    .sgpr_spill_count: 0
    .symbol:         _ZL9cpy_f32_qIXadL_ZL17cpy_blck_f32_q5_1PKcPcEELi32EEvS1_S2_lllllllllllllll.kd
    .uniform_work_group_size: 1
    .uses_dynamic_stack: false
    .vgpr_count:     54
    .vgpr_spill_count: 0
    .wavefront_size: 32
  - .args:
      - .address_space:  global
        .offset:         0
        .size:           8
        .value_kind:     global_buffer
      - .address_space:  global
        .offset:         8
        .size:           8
        .value_kind:     global_buffer
      - .offset:         16
        .size:           8
        .value_kind:     by_value
      - .offset:         24
        .size:           8
        .value_kind:     by_value
      - .offset:         32
        .size:           8
        .value_kind:     by_value
      - .offset:         40
        .size:           8
        .value_kind:     by_value
      - .offset:         48
        .size:           8
        .value_kind:     by_value
      - .offset:         56
        .size:           8
        .value_kind:     by_value
      - .offset:         64
        .size:           8
        .value_kind:     by_value
      - .offset:         72
        .size:           8
        .value_kind:     by_value
      - .offset:         80
        .size:           8
        .value_kind:     by_value
      - .offset:         88
        .size:           8
        .value_kind:     by_value
      - .offset:         96
        .size:           8
        .value_kind:     by_value
      - .offset:         104
        .size:           8
        .value_kind:     by_value
      - .offset:         112
        .size:           8
        .value_kind:     by_value
      - .offset:         120
        .size:           8
        .value_kind:     by_value
      - .offset:         128
        .size:           8
        .value_kind:     by_value
      - .offset:         136
        .size:           4
        .value_kind:     hidden_block_count_x
      - .offset:         140
        .size:           4
        .value_kind:     hidden_block_count_y
      - .offset:         144
        .size:           4
        .value_kind:     hidden_block_count_z
      - .offset:         148
        .size:           2
        .value_kind:     hidden_group_size_x
      - .offset:         150
        .size:           2
        .value_kind:     hidden_group_size_y
      - .offset:         152
        .size:           2
        .value_kind:     hidden_group_size_z
      - .offset:         154
        .size:           2
        .value_kind:     hidden_remainder_x
      - .offset:         156
        .size:           2
        .value_kind:     hidden_remainder_y
      - .offset:         158
        .size:           2
        .value_kind:     hidden_remainder_z
      - .offset:         176
        .size:           8
        .value_kind:     hidden_global_offset_x
      - .offset:         184
        .size:           8
        .value_kind:     hidden_global_offset_y
      - .offset:         192
        .size:           8
        .value_kind:     hidden_global_offset_z
      - .offset:         200
        .size:           2
        .value_kind:     hidden_grid_dims
    .group_segment_fixed_size: 0
    .kernarg_segment_align: 8
    .kernarg_segment_size: 392
    .language:       OpenCL C
    .language_version:
      - 2
      - 0
    .max_flat_workgroup_size: 1024
    .name:           _ZL9cpy_q_f32IXadL_ZL14cpy_blck_q_f32IXadL_ZL15dequantize_q5_1PKvliR15HIP_vector_typeIfLj2EEEELi32EEvPKcPcEELi32EEvS7_S8_lllllllllllllll
    .private_segment_fixed_size: 0
    .sgpr_count:     54
    .sgpr_spill_count: 0
    .symbol:         _ZL9cpy_q_f32IXadL_ZL14cpy_blck_q_f32IXadL_ZL15dequantize_q5_1PKvliR15HIP_vector_typeIfLj2EEEELi32EEvPKcPcEELi32EEvS7_S8_lllllllllllllll.kd
    .uniform_work_group_size: 1
    .uses_dynamic_stack: false
    .vgpr_count:     30
    .vgpr_spill_count: 0
    .wavefront_size: 32
  - .args:
      - .address_space:  global
        .offset:         0
        .size:           8
        .value_kind:     global_buffer
      - .address_space:  global
        .offset:         8
        .size:           8
        .value_kind:     global_buffer
      - .offset:         16
        .size:           8
        .value_kind:     by_value
      - .offset:         24
        .size:           8
        .value_kind:     by_value
      - .offset:         32
        .size:           8
        .value_kind:     by_value
      - .offset:         40
        .size:           8
        .value_kind:     by_value
      - .offset:         48
        .size:           8
        .value_kind:     by_value
      - .offset:         56
        .size:           8
        .value_kind:     by_value
      - .offset:         64
        .size:           8
        .value_kind:     by_value
      - .offset:         72
        .size:           8
        .value_kind:     by_value
      - .offset:         80
        .size:           8
        .value_kind:     by_value
      - .offset:         88
        .size:           8
        .value_kind:     by_value
      - .offset:         96
        .size:           8
        .value_kind:     by_value
      - .offset:         104
        .size:           8
        .value_kind:     by_value
      - .offset:         112
        .size:           8
        .value_kind:     by_value
      - .offset:         120
        .size:           8
        .value_kind:     by_value
      - .offset:         128
        .size:           8
        .value_kind:     by_value
      - .offset:         136
        .size:           4
        .value_kind:     hidden_block_count_x
      - .offset:         140
        .size:           4
        .value_kind:     hidden_block_count_y
      - .offset:         144
        .size:           4
        .value_kind:     hidden_block_count_z
      - .offset:         148
        .size:           2
        .value_kind:     hidden_group_size_x
      - .offset:         150
        .size:           2
        .value_kind:     hidden_group_size_y
      - .offset:         152
        .size:           2
        .value_kind:     hidden_group_size_z
      - .offset:         154
        .size:           2
        .value_kind:     hidden_remainder_x
      - .offset:         156
        .size:           2
        .value_kind:     hidden_remainder_y
      - .offset:         158
        .size:           2
        .value_kind:     hidden_remainder_z
      - .offset:         176
        .size:           8
        .value_kind:     hidden_global_offset_x
      - .offset:         184
        .size:           8
        .value_kind:     hidden_global_offset_y
      - .offset:         192
        .size:           8
        .value_kind:     hidden_global_offset_z
      - .offset:         200
        .size:           2
        .value_kind:     hidden_grid_dims
    .group_segment_fixed_size: 0
    .kernarg_segment_align: 8
    .kernarg_segment_size: 392
    .language:       OpenCL C
    .language_version:
      - 2
      - 0
    .max_flat_workgroup_size: 1024
    .name:           _ZL9cpy_f32_qIXadL_ZL19cpy_blck_f32_iq4_nlPKcPcEELi32EEvS1_S2_lllllllllllllll
    .private_segment_fixed_size: 0
    .sgpr_count:     54
    .sgpr_spill_count: 0
    .symbol:         _ZL9cpy_f32_qIXadL_ZL19cpy_blck_f32_iq4_nlPKcPcEELi32EEvS1_S2_lllllllllllllll.kd
    .uniform_work_group_size: 1
    .uses_dynamic_stack: false
    .vgpr_count:     48
    .vgpr_spill_count: 0
    .wavefront_size: 32
  - .args:
      - .address_space:  global
        .offset:         0
        .size:           8
        .value_kind:     global_buffer
      - .address_space:  global
        .offset:         8
        .size:           8
        .value_kind:     global_buffer
      - .offset:         16
        .size:           8
        .value_kind:     by_value
      - .offset:         24
        .size:           8
        .value_kind:     by_value
      - .offset:         32
        .size:           8
        .value_kind:     by_value
      - .offset:         40
        .size:           8
        .value_kind:     by_value
      - .offset:         48
        .size:           8
        .value_kind:     by_value
      - .offset:         56
        .size:           8
        .value_kind:     by_value
      - .offset:         64
        .size:           8
        .value_kind:     by_value
      - .offset:         72
        .size:           8
        .value_kind:     by_value
      - .offset:         80
        .size:           8
        .value_kind:     by_value
      - .offset:         88
        .size:           8
        .value_kind:     by_value
      - .offset:         96
        .size:           8
        .value_kind:     by_value
      - .offset:         104
        .size:           8
        .value_kind:     by_value
      - .offset:         112
        .size:           8
        .value_kind:     by_value
      - .offset:         120
        .size:           8
        .value_kind:     by_value
      - .offset:         128
        .size:           8
        .value_kind:     by_value
    .group_segment_fixed_size: 8448
    .kernarg_segment_align: 8
    .kernarg_segment_size: 136
    .language:       OpenCL C
    .language_version:
      - 2
      - 0
    .max_flat_workgroup_size: 1024
    .name:           _ZL20cpy_scalar_transposeIfEvPKcPclllllllllllllll
    .private_segment_fixed_size: 0
    .sgpr_count:     32
    .sgpr_spill_count: 0
    .symbol:         _ZL20cpy_scalar_transposeIfEvPKcPclllllllllllllll.kd
    .uniform_work_group_size: 1
    .uses_dynamic_stack: false
    .vgpr_count:     20
    .vgpr_spill_count: 0
    .wavefront_size: 32
  - .args:
      - .address_space:  global
        .offset:         0
        .size:           8
        .value_kind:     global_buffer
      - .address_space:  global
        .offset:         8
        .size:           8
        .value_kind:     global_buffer
      - .offset:         16
        .size:           8
        .value_kind:     by_value
      - .offset:         24
        .size:           8
        .value_kind:     by_value
      - .offset:         32
        .size:           8
        .value_kind:     by_value
      - .offset:         40
        .size:           8
        .value_kind:     by_value
      - .offset:         48
        .size:           8
        .value_kind:     by_value
      - .offset:         56
        .size:           8
        .value_kind:     by_value
      - .offset:         64
        .size:           8
        .value_kind:     by_value
      - .offset:         72
        .size:           8
        .value_kind:     by_value
      - .offset:         80
        .size:           8
        .value_kind:     by_value
      - .offset:         88
        .size:           8
        .value_kind:     by_value
      - .offset:         96
        .size:           8
        .value_kind:     by_value
      - .offset:         104
        .size:           8
        .value_kind:     by_value
      - .offset:         112
        .size:           8
        .value_kind:     by_value
      - .offset:         120
        .size:           8
        .value_kind:     by_value
      - .offset:         128
        .size:           8
        .value_kind:     by_value
      - .offset:         136
        .size:           4
        .value_kind:     hidden_block_count_x
      - .offset:         140
        .size:           4
        .value_kind:     hidden_block_count_y
      - .offset:         144
        .size:           4
        .value_kind:     hidden_block_count_z
      - .offset:         148
        .size:           2
        .value_kind:     hidden_group_size_x
      - .offset:         150
        .size:           2
        .value_kind:     hidden_group_size_y
      - .offset:         152
        .size:           2
        .value_kind:     hidden_group_size_z
      - .offset:         154
        .size:           2
        .value_kind:     hidden_remainder_x
      - .offset:         156
        .size:           2
        .value_kind:     hidden_remainder_y
      - .offset:         158
        .size:           2
        .value_kind:     hidden_remainder_z
      - .offset:         176
        .size:           8
        .value_kind:     hidden_global_offset_x
      - .offset:         184
        .size:           8
        .value_kind:     hidden_global_offset_y
      - .offset:         192
        .size:           8
        .value_kind:     hidden_global_offset_z
      - .offset:         200
        .size:           2
        .value_kind:     hidden_grid_dims
    .group_segment_fixed_size: 0
    .kernarg_segment_align: 8
    .kernarg_segment_size: 392
    .language:       OpenCL C
    .language_version:
      - 2
      - 0
    .max_flat_workgroup_size: 1024
    .name:           _ZL10cpy_scalarIXadL_ZL12cpy_1_scalarIffEvPKcPcEEEvS2_S3_lllllllllllllll
    .private_segment_fixed_size: 0
    .sgpr_count:     54
    .sgpr_spill_count: 0
    .symbol:         _ZL10cpy_scalarIXadL_ZL12cpy_1_scalarIffEvPKcPcEEEvS2_S3_lllllllllllllll.kd
    .uniform_work_group_size: 1
    .uses_dynamic_stack: false
    .vgpr_count:     30
    .vgpr_spill_count: 0
    .wavefront_size: 32
  - .args:
      - .address_space:  global
        .offset:         0
        .size:           8
        .value_kind:     global_buffer
      - .address_space:  global
        .offset:         8
        .size:           8
        .value_kind:     global_buffer
      - .offset:         16
        .size:           8
        .value_kind:     by_value
      - .offset:         24
        .size:           4
        .value_kind:     hidden_block_count_x
      - .offset:         28
        .size:           4
        .value_kind:     hidden_block_count_y
      - .offset:         32
        .size:           4
        .value_kind:     hidden_block_count_z
      - .offset:         36
        .size:           2
        .value_kind:     hidden_group_size_x
      - .offset:         38
        .size:           2
        .value_kind:     hidden_group_size_y
      - .offset:         40
        .size:           2
        .value_kind:     hidden_group_size_z
      - .offset:         42
        .size:           2
        .value_kind:     hidden_remainder_x
      - .offset:         44
        .size:           2
        .value_kind:     hidden_remainder_y
      - .offset:         46
        .size:           2
        .value_kind:     hidden_remainder_z
      - .offset:         64
        .size:           8
        .value_kind:     hidden_global_offset_x
      - .offset:         72
        .size:           8
        .value_kind:     hidden_global_offset_y
      - .offset:         80
        .size:           8
        .value_kind:     hidden_global_offset_z
      - .offset:         88
        .size:           2
        .value_kind:     hidden_grid_dims
    .group_segment_fixed_size: 0
    .kernarg_segment_align: 8
    .kernarg_segment_size: 280
    .language:       OpenCL C
    .language_version:
      - 2
      - 0
    .max_flat_workgroup_size: 1024
    .name:           _ZL21cpy_scalar_contiguousIf14__hip_bfloat16EvPKcPcl
    .private_segment_fixed_size: 0
    .sgpr_count:     10
    .sgpr_spill_count: 0
    .symbol:         _ZL21cpy_scalar_contiguousIf14__hip_bfloat16EvPKcPcl.kd
    .uniform_work_group_size: 1
    .uses_dynamic_stack: false
    .vgpr_count:     4
    .vgpr_spill_count: 0
    .wavefront_size: 32
  - .args:
      - .address_space:  global
        .offset:         0
        .size:           8
        .value_kind:     global_buffer
      - .address_space:  global
        .offset:         8
        .size:           8
        .value_kind:     global_buffer
      - .offset:         16
        .size:           8
        .value_kind:     by_value
      - .offset:         24
        .size:           8
        .value_kind:     by_value
      - .offset:         32
        .size:           8
        .value_kind:     by_value
      - .offset:         40
        .size:           8
        .value_kind:     by_value
      - .offset:         48
        .size:           8
        .value_kind:     by_value
      - .offset:         56
        .size:           8
        .value_kind:     by_value
      - .offset:         64
        .size:           8
        .value_kind:     by_value
      - .offset:         72
        .size:           8
        .value_kind:     by_value
      - .offset:         80
        .size:           8
        .value_kind:     by_value
      - .offset:         88
        .size:           8
        .value_kind:     by_value
      - .offset:         96
        .size:           8
        .value_kind:     by_value
      - .offset:         104
        .size:           8
        .value_kind:     by_value
      - .offset:         112
        .size:           8
        .value_kind:     by_value
      - .offset:         120
        .size:           8
        .value_kind:     by_value
      - .offset:         128
        .size:           8
        .value_kind:     by_value
    .group_segment_fixed_size: 8448
    .kernarg_segment_align: 8
    .kernarg_segment_size: 136
    .language:       OpenCL C
    .language_version:
      - 2
      - 0
    .max_flat_workgroup_size: 1024
    .name:           _ZL20cpy_scalar_transposeI14__hip_bfloat16EvPKcPclllllllllllllll
    .private_segment_fixed_size: 0
    .sgpr_count:     32
    .sgpr_spill_count: 0
    .symbol:         _ZL20cpy_scalar_transposeI14__hip_bfloat16EvPKcPclllllllllllllll.kd
    .uniform_work_group_size: 1
    .uses_dynamic_stack: false
    .vgpr_count:     21
    .vgpr_spill_count: 0
    .wavefront_size: 32
  - .args:
      - .address_space:  global
        .offset:         0
        .size:           8
        .value_kind:     global_buffer
      - .address_space:  global
        .offset:         8
        .size:           8
        .value_kind:     global_buffer
      - .offset:         16
        .size:           8
        .value_kind:     by_value
      - .offset:         24
        .size:           8
        .value_kind:     by_value
      - .offset:         32
        .size:           8
        .value_kind:     by_value
      - .offset:         40
        .size:           8
        .value_kind:     by_value
      - .offset:         48
        .size:           8
        .value_kind:     by_value
      - .offset:         56
        .size:           8
        .value_kind:     by_value
      - .offset:         64
        .size:           8
        .value_kind:     by_value
      - .offset:         72
        .size:           8
        .value_kind:     by_value
      - .offset:         80
        .size:           8
        .value_kind:     by_value
      - .offset:         88
        .size:           8
        .value_kind:     by_value
      - .offset:         96
        .size:           8
        .value_kind:     by_value
      - .offset:         104
        .size:           8
        .value_kind:     by_value
      - .offset:         112
        .size:           8
        .value_kind:     by_value
      - .offset:         120
        .size:           8
        .value_kind:     by_value
      - .offset:         128
        .size:           8
        .value_kind:     by_value
      - .offset:         136
        .size:           4
        .value_kind:     hidden_block_count_x
      - .offset:         140
        .size:           4
        .value_kind:     hidden_block_count_y
      - .offset:         144
        .size:           4
        .value_kind:     hidden_block_count_z
      - .offset:         148
        .size:           2
        .value_kind:     hidden_group_size_x
      - .offset:         150
        .size:           2
        .value_kind:     hidden_group_size_y
      - .offset:         152
        .size:           2
        .value_kind:     hidden_group_size_z
      - .offset:         154
        .size:           2
        .value_kind:     hidden_remainder_x
      - .offset:         156
        .size:           2
        .value_kind:     hidden_remainder_y
      - .offset:         158
        .size:           2
        .value_kind:     hidden_remainder_z
      - .offset:         176
        .size:           8
        .value_kind:     hidden_global_offset_x
      - .offset:         184
        .size:           8
        .value_kind:     hidden_global_offset_y
      - .offset:         192
        .size:           8
        .value_kind:     hidden_global_offset_z
      - .offset:         200
        .size:           2
        .value_kind:     hidden_grid_dims
    .group_segment_fixed_size: 0
    .kernarg_segment_align: 8
    .kernarg_segment_size: 392
    .language:       OpenCL C
    .language_version:
      - 2
      - 0
    .max_flat_workgroup_size: 1024
    .name:           _ZL10cpy_scalarIXadL_ZL12cpy_1_scalarIf14__hip_bfloat16EvPKcPcEEEvS3_S4_lllllllllllllll
    .private_segment_fixed_size: 0
    .sgpr_count:     54
    .sgpr_spill_count: 0
    .symbol:         _ZL10cpy_scalarIXadL_ZL12cpy_1_scalarIf14__hip_bfloat16EvPKcPcEEEvS3_S4_lllllllllllllll.kd
    .uniform_work_group_size: 1
    .uses_dynamic_stack: false
    .vgpr_count:     30
    .vgpr_spill_count: 0
    .wavefront_size: 32
  - .args:
      - .address_space:  global
        .offset:         0
        .size:           8
        .value_kind:     global_buffer
      - .address_space:  global
        .offset:         8
        .size:           8
        .value_kind:     global_buffer
      - .offset:         16
        .size:           8
        .value_kind:     by_value
      - .offset:         24
        .size:           4
        .value_kind:     hidden_block_count_x
      - .offset:         28
        .size:           4
        .value_kind:     hidden_block_count_y
      - .offset:         32
        .size:           4
        .value_kind:     hidden_block_count_z
      - .offset:         36
        .size:           2
        .value_kind:     hidden_group_size_x
      - .offset:         38
        .size:           2
        .value_kind:     hidden_group_size_y
      - .offset:         40
        .size:           2
        .value_kind:     hidden_group_size_z
      - .offset:         42
        .size:           2
        .value_kind:     hidden_remainder_x
      - .offset:         44
        .size:           2
        .value_kind:     hidden_remainder_y
      - .offset:         46
        .size:           2
        .value_kind:     hidden_remainder_z
      - .offset:         64
        .size:           8
        .value_kind:     hidden_global_offset_x
      - .offset:         72
        .size:           8
        .value_kind:     hidden_global_offset_y
      - .offset:         80
        .size:           8
        .value_kind:     hidden_global_offset_z
      - .offset:         88
        .size:           2
        .value_kind:     hidden_grid_dims
    .group_segment_fixed_size: 0
    .kernarg_segment_align: 8
    .kernarg_segment_size: 280
    .language:       OpenCL C
    .language_version:
      - 2
      - 0
    .max_flat_workgroup_size: 1024
    .name:           _ZL21cpy_scalar_contiguousIf6__halfEvPKcPcl
    .private_segment_fixed_size: 0
    .sgpr_count:     10
    .sgpr_spill_count: 0
    .symbol:         _ZL21cpy_scalar_contiguousIf6__halfEvPKcPcl.kd
    .uniform_work_group_size: 1
    .uses_dynamic_stack: false
    .vgpr_count:     4
    .vgpr_spill_count: 0
    .wavefront_size: 32
  - .args:
      - .address_space:  global
        .offset:         0
        .size:           8
        .value_kind:     global_buffer
      - .address_space:  global
        .offset:         8
        .size:           8
        .value_kind:     global_buffer
      - .offset:         16
        .size:           8
        .value_kind:     by_value
      - .offset:         24
        .size:           8
        .value_kind:     by_value
      - .offset:         32
        .size:           8
        .value_kind:     by_value
      - .offset:         40
        .size:           8
        .value_kind:     by_value
      - .offset:         48
        .size:           8
        .value_kind:     by_value
      - .offset:         56
        .size:           8
        .value_kind:     by_value
      - .offset:         64
        .size:           8
        .value_kind:     by_value
      - .offset:         72
        .size:           8
        .value_kind:     by_value
      - .offset:         80
        .size:           8
        .value_kind:     by_value
      - .offset:         88
        .size:           8
        .value_kind:     by_value
      - .offset:         96
        .size:           8
        .value_kind:     by_value
      - .offset:         104
        .size:           8
        .value_kind:     by_value
      - .offset:         112
        .size:           8
        .value_kind:     by_value
      - .offset:         120
        .size:           8
        .value_kind:     by_value
      - .offset:         128
        .size:           8
        .value_kind:     by_value
    .group_segment_fixed_size: 8448
    .kernarg_segment_align: 8
    .kernarg_segment_size: 136
    .language:       OpenCL C
    .language_version:
      - 2
      - 0
    .max_flat_workgroup_size: 1024
    .name:           _ZL20cpy_scalar_transposeI6__halfEvPKcPclllllllllllllll
    .private_segment_fixed_size: 0
    .sgpr_count:     32
    .sgpr_spill_count: 0
    .symbol:         _ZL20cpy_scalar_transposeI6__halfEvPKcPclllllllllllllll.kd
    .uniform_work_group_size: 1
    .uses_dynamic_stack: false
    .vgpr_count:     21
    .vgpr_spill_count: 0
    .wavefront_size: 32
  - .args:
      - .address_space:  global
        .offset:         0
        .size:           8
        .value_kind:     global_buffer
      - .address_space:  global
        .offset:         8
        .size:           8
        .value_kind:     global_buffer
      - .offset:         16
        .size:           8
        .value_kind:     by_value
      - .offset:         24
        .size:           8
        .value_kind:     by_value
      - .offset:         32
        .size:           8
        .value_kind:     by_value
      - .offset:         40
        .size:           8
        .value_kind:     by_value
      - .offset:         48
        .size:           8
        .value_kind:     by_value
      - .offset:         56
        .size:           8
        .value_kind:     by_value
      - .offset:         64
        .size:           8
        .value_kind:     by_value
      - .offset:         72
        .size:           8
        .value_kind:     by_value
      - .offset:         80
        .size:           8
        .value_kind:     by_value
      - .offset:         88
        .size:           8
        .value_kind:     by_value
      - .offset:         96
        .size:           8
        .value_kind:     by_value
      - .offset:         104
        .size:           8
        .value_kind:     by_value
      - .offset:         112
        .size:           8
        .value_kind:     by_value
      - .offset:         120
        .size:           8
        .value_kind:     by_value
      - .offset:         128
        .size:           8
        .value_kind:     by_value
      - .offset:         136
        .size:           4
        .value_kind:     hidden_block_count_x
      - .offset:         140
        .size:           4
        .value_kind:     hidden_block_count_y
      - .offset:         144
        .size:           4
        .value_kind:     hidden_block_count_z
      - .offset:         148
        .size:           2
        .value_kind:     hidden_group_size_x
      - .offset:         150
        .size:           2
        .value_kind:     hidden_group_size_y
      - .offset:         152
        .size:           2
        .value_kind:     hidden_group_size_z
      - .offset:         154
        .size:           2
        .value_kind:     hidden_remainder_x
      - .offset:         156
        .size:           2
        .value_kind:     hidden_remainder_y
      - .offset:         158
        .size:           2
        .value_kind:     hidden_remainder_z
      - .offset:         176
        .size:           8
        .value_kind:     hidden_global_offset_x
      - .offset:         184
        .size:           8
        .value_kind:     hidden_global_offset_y
      - .offset:         192
        .size:           8
        .value_kind:     hidden_global_offset_z
      - .offset:         200
        .size:           2
        .value_kind:     hidden_grid_dims
    .group_segment_fixed_size: 0
    .kernarg_segment_align: 8
    .kernarg_segment_size: 392
    .language:       OpenCL C
    .language_version:
      - 2
      - 0
    .max_flat_workgroup_size: 1024
    .name:           _ZL10cpy_scalarIXadL_ZL12cpy_1_scalarIf6__halfEvPKcPcEEEvS3_S4_lllllllllllllll
    .private_segment_fixed_size: 0
    .sgpr_count:     54
    .sgpr_spill_count: 0
    .symbol:         _ZL10cpy_scalarIXadL_ZL12cpy_1_scalarIf6__halfEvPKcPcEEEvS3_S4_lllllllllllllll.kd
    .uniform_work_group_size: 1
    .uses_dynamic_stack: false
    .vgpr_count:     30
    .vgpr_spill_count: 0
    .wavefront_size: 32
  - .args:
      - .address_space:  global
        .offset:         0
        .size:           8
        .value_kind:     global_buffer
      - .address_space:  global
        .offset:         8
        .size:           8
        .value_kind:     global_buffer
      - .offset:         16
        .size:           8
        .value_kind:     by_value
      - .offset:         24
        .size:           8
        .value_kind:     by_value
      - .offset:         32
        .size:           8
        .value_kind:     by_value
      - .offset:         40
        .size:           8
        .value_kind:     by_value
      - .offset:         48
        .size:           8
        .value_kind:     by_value
      - .offset:         56
        .size:           8
        .value_kind:     by_value
      - .offset:         64
        .size:           8
        .value_kind:     by_value
      - .offset:         72
        .size:           8
        .value_kind:     by_value
      - .offset:         80
        .size:           8
        .value_kind:     by_value
      - .offset:         88
        .size:           8
        .value_kind:     by_value
      - .offset:         96
        .size:           8
        .value_kind:     by_value
      - .offset:         104
        .size:           8
        .value_kind:     by_value
      - .offset:         112
        .size:           8
        .value_kind:     by_value
      - .offset:         120
        .size:           8
        .value_kind:     by_value
      - .offset:         128
        .size:           8
        .value_kind:     by_value
      - .offset:         136
        .size:           4
        .value_kind:     hidden_block_count_x
      - .offset:         140
        .size:           4
        .value_kind:     hidden_block_count_y
      - .offset:         144
        .size:           4
        .value_kind:     hidden_block_count_z
      - .offset:         148
        .size:           2
        .value_kind:     hidden_group_size_x
      - .offset:         150
        .size:           2
        .value_kind:     hidden_group_size_y
      - .offset:         152
        .size:           2
        .value_kind:     hidden_group_size_z
      - .offset:         154
        .size:           2
        .value_kind:     hidden_remainder_x
      - .offset:         156
        .size:           2
        .value_kind:     hidden_remainder_y
      - .offset:         158
        .size:           2
        .value_kind:     hidden_remainder_z
      - .offset:         176
        .size:           8
        .value_kind:     hidden_global_offset_x
      - .offset:         184
        .size:           8
        .value_kind:     hidden_global_offset_y
      - .offset:         192
        .size:           8
        .value_kind:     hidden_global_offset_z
      - .offset:         200
        .size:           2
        .value_kind:     hidden_grid_dims
    .group_segment_fixed_size: 0
    .kernarg_segment_align: 8
    .kernarg_segment_size: 392
    .language:       OpenCL C
    .language_version:
      - 2
      - 0
    .max_flat_workgroup_size: 1024
    .name:           _ZL10cpy_scalarIXadL_ZL12cpy_1_scalarI6__halfS1_EvPKcPcEEEvS3_S4_lllllllllllllll
    .private_segment_fixed_size: 0
    .sgpr_count:     54
    .sgpr_spill_count: 0
    .symbol:         _ZL10cpy_scalarIXadL_ZL12cpy_1_scalarI6__halfS1_EvPKcPcEEEvS3_S4_lllllllllllllll.kd
    .uniform_work_group_size: 1
    .uses_dynamic_stack: false
    .vgpr_count:     30
    .vgpr_spill_count: 0
    .wavefront_size: 32
  - .args:
      - .address_space:  global
        .offset:         0
        .size:           8
        .value_kind:     global_buffer
      - .address_space:  global
        .offset:         8
        .size:           8
        .value_kind:     global_buffer
      - .offset:         16
        .size:           8
        .value_kind:     by_value
      - .offset:         24
        .size:           4
        .value_kind:     hidden_block_count_x
      - .offset:         28
        .size:           4
        .value_kind:     hidden_block_count_y
      - .offset:         32
        .size:           4
        .value_kind:     hidden_block_count_z
      - .offset:         36
        .size:           2
        .value_kind:     hidden_group_size_x
      - .offset:         38
        .size:           2
        .value_kind:     hidden_group_size_y
      - .offset:         40
        .size:           2
        .value_kind:     hidden_group_size_z
      - .offset:         42
        .size:           2
        .value_kind:     hidden_remainder_x
      - .offset:         44
        .size:           2
        .value_kind:     hidden_remainder_y
      - .offset:         46
        .size:           2
        .value_kind:     hidden_remainder_z
      - .offset:         64
        .size:           8
        .value_kind:     hidden_global_offset_x
      - .offset:         72
        .size:           8
        .value_kind:     hidden_global_offset_y
      - .offset:         80
        .size:           8
        .value_kind:     hidden_global_offset_z
      - .offset:         88
        .size:           2
        .value_kind:     hidden_grid_dims
    .group_segment_fixed_size: 0
    .kernarg_segment_align: 8
    .kernarg_segment_size: 280
    .language:       OpenCL C
    .language_version:
      - 2
      - 0
    .max_flat_workgroup_size: 1024
    .name:           _ZL21cpy_scalar_contiguousI6__half14__hip_bfloat16EvPKcPcl
    .private_segment_fixed_size: 0
    .sgpr_count:     10
    .sgpr_spill_count: 0
    .symbol:         _ZL21cpy_scalar_contiguousI6__half14__hip_bfloat16EvPKcPcl.kd
    .uniform_work_group_size: 1
    .uses_dynamic_stack: false
    .vgpr_count:     4
    .vgpr_spill_count: 0
    .wavefront_size: 32
  - .args:
      - .address_space:  global
        .offset:         0
        .size:           8
        .value_kind:     global_buffer
      - .address_space:  global
        .offset:         8
        .size:           8
        .value_kind:     global_buffer
      - .offset:         16
        .size:           8
        .value_kind:     by_value
      - .offset:         24
        .size:           8
        .value_kind:     by_value
      - .offset:         32
        .size:           8
        .value_kind:     by_value
      - .offset:         40
        .size:           8
        .value_kind:     by_value
      - .offset:         48
        .size:           8
        .value_kind:     by_value
      - .offset:         56
        .size:           8
        .value_kind:     by_value
      - .offset:         64
        .size:           8
        .value_kind:     by_value
      - .offset:         72
        .size:           8
        .value_kind:     by_value
      - .offset:         80
        .size:           8
        .value_kind:     by_value
      - .offset:         88
        .size:           8
        .value_kind:     by_value
      - .offset:         96
        .size:           8
        .value_kind:     by_value
      - .offset:         104
        .size:           8
        .value_kind:     by_value
      - .offset:         112
        .size:           8
        .value_kind:     by_value
      - .offset:         120
        .size:           8
        .value_kind:     by_value
      - .offset:         128
        .size:           8
        .value_kind:     by_value
      - .offset:         136
        .size:           4
        .value_kind:     hidden_block_count_x
      - .offset:         140
        .size:           4
        .value_kind:     hidden_block_count_y
      - .offset:         144
        .size:           4
        .value_kind:     hidden_block_count_z
      - .offset:         148
        .size:           2
        .value_kind:     hidden_group_size_x
      - .offset:         150
        .size:           2
        .value_kind:     hidden_group_size_y
      - .offset:         152
        .size:           2
        .value_kind:     hidden_group_size_z
      - .offset:         154
        .size:           2
        .value_kind:     hidden_remainder_x
      - .offset:         156
        .size:           2
        .value_kind:     hidden_remainder_y
      - .offset:         158
        .size:           2
        .value_kind:     hidden_remainder_z
      - .offset:         176
        .size:           8
        .value_kind:     hidden_global_offset_x
      - .offset:         184
        .size:           8
        .value_kind:     hidden_global_offset_y
      - .offset:         192
        .size:           8
        .value_kind:     hidden_global_offset_z
      - .offset:         200
        .size:           2
        .value_kind:     hidden_grid_dims
    .group_segment_fixed_size: 0
    .kernarg_segment_align: 8
    .kernarg_segment_size: 392
    .language:       OpenCL C
    .language_version:
      - 2
      - 0
    .max_flat_workgroup_size: 1024
    .name:           _ZL10cpy_scalarIXadL_ZL12cpy_1_scalarI6__half14__hip_bfloat16EvPKcPcEEEvS4_S5_lllllllllllllll
    .private_segment_fixed_size: 0
    .sgpr_count:     54
    .sgpr_spill_count: 0
    .symbol:         _ZL10cpy_scalarIXadL_ZL12cpy_1_scalarI6__half14__hip_bfloat16EvPKcPcEEEvS4_S5_lllllllllllllll.kd
    .uniform_work_group_size: 1
    .uses_dynamic_stack: false
    .vgpr_count:     30
    .vgpr_spill_count: 0
    .wavefront_size: 32
  - .args:
      - .address_space:  global
        .offset:         0
        .size:           8
        .value_kind:     global_buffer
      - .address_space:  global
        .offset:         8
        .size:           8
        .value_kind:     global_buffer
      - .offset:         16
        .size:           8
        .value_kind:     by_value
      - .offset:         24
        .size:           4
        .value_kind:     hidden_block_count_x
      - .offset:         28
        .size:           4
        .value_kind:     hidden_block_count_y
      - .offset:         32
        .size:           4
        .value_kind:     hidden_block_count_z
      - .offset:         36
        .size:           2
        .value_kind:     hidden_group_size_x
      - .offset:         38
        .size:           2
        .value_kind:     hidden_group_size_y
      - .offset:         40
        .size:           2
        .value_kind:     hidden_group_size_z
      - .offset:         42
        .size:           2
        .value_kind:     hidden_remainder_x
      - .offset:         44
        .size:           2
        .value_kind:     hidden_remainder_y
      - .offset:         46
        .size:           2
        .value_kind:     hidden_remainder_z
      - .offset:         64
        .size:           8
        .value_kind:     hidden_global_offset_x
      - .offset:         72
        .size:           8
        .value_kind:     hidden_global_offset_y
      - .offset:         80
        .size:           8
        .value_kind:     hidden_global_offset_z
      - .offset:         88
        .size:           2
        .value_kind:     hidden_grid_dims
    .group_segment_fixed_size: 0
    .kernarg_segment_align: 8
    .kernarg_segment_size: 280
    .language:       OpenCL C
    .language_version:
      - 2
      - 0
    .max_flat_workgroup_size: 1024
    .name:           _ZL21cpy_scalar_contiguousI6__halffEvPKcPcl
    .private_segment_fixed_size: 0
    .sgpr_count:     10
    .sgpr_spill_count: 0
    .symbol:         _ZL21cpy_scalar_contiguousI6__halffEvPKcPcl.kd
    .uniform_work_group_size: 1
    .uses_dynamic_stack: false
    .vgpr_count:     4
    .vgpr_spill_count: 0
    .wavefront_size: 32
  - .args:
      - .address_space:  global
        .offset:         0
        .size:           8
        .value_kind:     global_buffer
      - .address_space:  global
        .offset:         8
        .size:           8
        .value_kind:     global_buffer
      - .offset:         16
        .size:           8
        .value_kind:     by_value
      - .offset:         24
        .size:           8
        .value_kind:     by_value
      - .offset:         32
        .size:           8
        .value_kind:     by_value
      - .offset:         40
        .size:           8
        .value_kind:     by_value
      - .offset:         48
        .size:           8
        .value_kind:     by_value
      - .offset:         56
        .size:           8
        .value_kind:     by_value
      - .offset:         64
        .size:           8
        .value_kind:     by_value
      - .offset:         72
        .size:           8
        .value_kind:     by_value
      - .offset:         80
        .size:           8
        .value_kind:     by_value
      - .offset:         88
        .size:           8
        .value_kind:     by_value
      - .offset:         96
        .size:           8
        .value_kind:     by_value
      - .offset:         104
        .size:           8
        .value_kind:     by_value
      - .offset:         112
        .size:           8
        .value_kind:     by_value
      - .offset:         120
        .size:           8
        .value_kind:     by_value
      - .offset:         128
        .size:           8
        .value_kind:     by_value
      - .offset:         136
        .size:           4
        .value_kind:     hidden_block_count_x
      - .offset:         140
        .size:           4
        .value_kind:     hidden_block_count_y
      - .offset:         144
        .size:           4
        .value_kind:     hidden_block_count_z
      - .offset:         148
        .size:           2
        .value_kind:     hidden_group_size_x
      - .offset:         150
        .size:           2
        .value_kind:     hidden_group_size_y
      - .offset:         152
        .size:           2
        .value_kind:     hidden_group_size_z
      - .offset:         154
        .size:           2
        .value_kind:     hidden_remainder_x
      - .offset:         156
        .size:           2
        .value_kind:     hidden_remainder_y
      - .offset:         158
        .size:           2
        .value_kind:     hidden_remainder_z
      - .offset:         176
        .size:           8
        .value_kind:     hidden_global_offset_x
      - .offset:         184
        .size:           8
        .value_kind:     hidden_global_offset_y
      - .offset:         192
        .size:           8
        .value_kind:     hidden_global_offset_z
      - .offset:         200
        .size:           2
        .value_kind:     hidden_grid_dims
    .group_segment_fixed_size: 0
    .kernarg_segment_align: 8
    .kernarg_segment_size: 392
    .language:       OpenCL C
    .language_version:
      - 2
      - 0
    .max_flat_workgroup_size: 1024
    .name:           _ZL10cpy_scalarIXadL_ZL12cpy_1_scalarI6__halffEvPKcPcEEEvS3_S4_lllllllllllllll
    .private_segment_fixed_size: 0
    .sgpr_count:     54
    .sgpr_spill_count: 0
    .symbol:         _ZL10cpy_scalarIXadL_ZL12cpy_1_scalarI6__halffEvPKcPcEEEvS3_S4_lllllllllllllll.kd
    .uniform_work_group_size: 1
    .uses_dynamic_stack: false
    .vgpr_count:     30
    .vgpr_spill_count: 0
    .wavefront_size: 32
  - .args:
      - .address_space:  global
        .offset:         0
        .size:           8
        .value_kind:     global_buffer
      - .address_space:  global
        .offset:         8
        .size:           8
        .value_kind:     global_buffer
      - .offset:         16
        .size:           8
        .value_kind:     by_value
      - .offset:         24
        .size:           8
        .value_kind:     by_value
      - .offset:         32
        .size:           8
        .value_kind:     by_value
      - .offset:         40
        .size:           8
        .value_kind:     by_value
      - .offset:         48
        .size:           8
        .value_kind:     by_value
      - .offset:         56
        .size:           8
        .value_kind:     by_value
      - .offset:         64
        .size:           8
        .value_kind:     by_value
      - .offset:         72
        .size:           8
        .value_kind:     by_value
      - .offset:         80
        .size:           8
        .value_kind:     by_value
      - .offset:         88
        .size:           8
        .value_kind:     by_value
      - .offset:         96
        .size:           8
        .value_kind:     by_value
      - .offset:         104
        .size:           8
        .value_kind:     by_value
      - .offset:         112
        .size:           8
        .value_kind:     by_value
      - .offset:         120
        .size:           8
        .value_kind:     by_value
      - .offset:         128
        .size:           8
        .value_kind:     by_value
      - .offset:         136
        .size:           4
        .value_kind:     hidden_block_count_x
      - .offset:         140
        .size:           4
        .value_kind:     hidden_block_count_y
      - .offset:         144
        .size:           4
        .value_kind:     hidden_block_count_z
      - .offset:         148
        .size:           2
        .value_kind:     hidden_group_size_x
      - .offset:         150
        .size:           2
        .value_kind:     hidden_group_size_y
      - .offset:         152
        .size:           2
        .value_kind:     hidden_group_size_z
      - .offset:         154
        .size:           2
        .value_kind:     hidden_remainder_x
      - .offset:         156
        .size:           2
        .value_kind:     hidden_remainder_y
      - .offset:         158
        .size:           2
        .value_kind:     hidden_remainder_z
      - .offset:         176
        .size:           8
        .value_kind:     hidden_global_offset_x
      - .offset:         184
        .size:           8
        .value_kind:     hidden_global_offset_y
      - .offset:         192
        .size:           8
        .value_kind:     hidden_global_offset_z
      - .offset:         200
        .size:           2
        .value_kind:     hidden_grid_dims
    .group_segment_fixed_size: 0
    .kernarg_segment_align: 8
    .kernarg_segment_size: 392
    .language:       OpenCL C
    .language_version:
      - 2
      - 0
    .max_flat_workgroup_size: 1024
    .name:           _ZL10cpy_scalarIXadL_ZL12cpy_1_scalarI14__hip_bfloat16S1_EvPKcPcEEEvS3_S4_lllllllllllllll
    .private_segment_fixed_size: 0
    .sgpr_count:     54
    .sgpr_spill_count: 0
    .symbol:         _ZL10cpy_scalarIXadL_ZL12cpy_1_scalarI14__hip_bfloat16S1_EvPKcPcEEEvS3_S4_lllllllllllllll.kd
    .uniform_work_group_size: 1
    .uses_dynamic_stack: false
    .vgpr_count:     30
    .vgpr_spill_count: 0
    .wavefront_size: 32
  - .args:
      - .address_space:  global
        .offset:         0
        .size:           8
        .value_kind:     global_buffer
      - .address_space:  global
        .offset:         8
        .size:           8
        .value_kind:     global_buffer
      - .offset:         16
        .size:           8
        .value_kind:     by_value
      - .offset:         24
        .size:           4
        .value_kind:     hidden_block_count_x
      - .offset:         28
        .size:           4
        .value_kind:     hidden_block_count_y
      - .offset:         32
        .size:           4
        .value_kind:     hidden_block_count_z
      - .offset:         36
        .size:           2
        .value_kind:     hidden_group_size_x
      - .offset:         38
        .size:           2
        .value_kind:     hidden_group_size_y
      - .offset:         40
        .size:           2
        .value_kind:     hidden_group_size_z
      - .offset:         42
        .size:           2
        .value_kind:     hidden_remainder_x
      - .offset:         44
        .size:           2
        .value_kind:     hidden_remainder_y
      - .offset:         46
        .size:           2
        .value_kind:     hidden_remainder_z
      - .offset:         64
        .size:           8
        .value_kind:     hidden_global_offset_x
      - .offset:         72
        .size:           8
        .value_kind:     hidden_global_offset_y
      - .offset:         80
        .size:           8
        .value_kind:     hidden_global_offset_z
      - .offset:         88
        .size:           2
        .value_kind:     hidden_grid_dims
    .group_segment_fixed_size: 0
    .kernarg_segment_align: 8
    .kernarg_segment_size: 280
    .language:       OpenCL C
    .language_version:
      - 2
      - 0
    .max_flat_workgroup_size: 1024
    .name:           _ZL21cpy_scalar_contiguousI14__hip_bfloat166__halfEvPKcPcl
    .private_segment_fixed_size: 0
    .sgpr_count:     10
    .sgpr_spill_count: 0
    .symbol:         _ZL21cpy_scalar_contiguousI14__hip_bfloat166__halfEvPKcPcl.kd
    .uniform_work_group_size: 1
    .uses_dynamic_stack: false
    .vgpr_count:     4
    .vgpr_spill_count: 0
    .wavefront_size: 32
  - .args:
      - .address_space:  global
        .offset:         0
        .size:           8
        .value_kind:     global_buffer
      - .address_space:  global
        .offset:         8
        .size:           8
        .value_kind:     global_buffer
      - .offset:         16
        .size:           8
        .value_kind:     by_value
      - .offset:         24
        .size:           8
        .value_kind:     by_value
      - .offset:         32
        .size:           8
        .value_kind:     by_value
      - .offset:         40
        .size:           8
        .value_kind:     by_value
      - .offset:         48
        .size:           8
        .value_kind:     by_value
      - .offset:         56
        .size:           8
        .value_kind:     by_value
      - .offset:         64
        .size:           8
        .value_kind:     by_value
      - .offset:         72
        .size:           8
        .value_kind:     by_value
      - .offset:         80
        .size:           8
        .value_kind:     by_value
      - .offset:         88
        .size:           8
        .value_kind:     by_value
      - .offset:         96
        .size:           8
        .value_kind:     by_value
      - .offset:         104
        .size:           8
        .value_kind:     by_value
      - .offset:         112
        .size:           8
        .value_kind:     by_value
      - .offset:         120
        .size:           8
        .value_kind:     by_value
      - .offset:         128
        .size:           8
        .value_kind:     by_value
      - .offset:         136
        .size:           4
        .value_kind:     hidden_block_count_x
      - .offset:         140
        .size:           4
        .value_kind:     hidden_block_count_y
      - .offset:         144
        .size:           4
        .value_kind:     hidden_block_count_z
      - .offset:         148
        .size:           2
        .value_kind:     hidden_group_size_x
      - .offset:         150
        .size:           2
        .value_kind:     hidden_group_size_y
      - .offset:         152
        .size:           2
        .value_kind:     hidden_group_size_z
      - .offset:         154
        .size:           2
        .value_kind:     hidden_remainder_x
      - .offset:         156
        .size:           2
        .value_kind:     hidden_remainder_y
      - .offset:         158
        .size:           2
        .value_kind:     hidden_remainder_z
      - .offset:         176
        .size:           8
        .value_kind:     hidden_global_offset_x
      - .offset:         184
        .size:           8
        .value_kind:     hidden_global_offset_y
      - .offset:         192
        .size:           8
        .value_kind:     hidden_global_offset_z
      - .offset:         200
        .size:           2
        .value_kind:     hidden_grid_dims
    .group_segment_fixed_size: 0
    .kernarg_segment_align: 8
    .kernarg_segment_size: 392
    .language:       OpenCL C
    .language_version:
      - 2
      - 0
    .max_flat_workgroup_size: 1024
    .name:           _ZL10cpy_scalarIXadL_ZL12cpy_1_scalarI14__hip_bfloat166__halfEvPKcPcEEEvS4_S5_lllllllllllllll
    .private_segment_fixed_size: 0
    .sgpr_count:     54
    .sgpr_spill_count: 0
    .symbol:         _ZL10cpy_scalarIXadL_ZL12cpy_1_scalarI14__hip_bfloat166__halfEvPKcPcEEEvS4_S5_lllllllllllllll.kd
    .uniform_work_group_size: 1
    .uses_dynamic_stack: false
    .vgpr_count:     30
    .vgpr_spill_count: 0
    .wavefront_size: 32
  - .args:
      - .address_space:  global
        .offset:         0
        .size:           8
        .value_kind:     global_buffer
      - .address_space:  global
        .offset:         8
        .size:           8
        .value_kind:     global_buffer
      - .offset:         16
        .size:           8
        .value_kind:     by_value
      - .offset:         24
        .size:           4
        .value_kind:     hidden_block_count_x
      - .offset:         28
        .size:           4
        .value_kind:     hidden_block_count_y
      - .offset:         32
        .size:           4
        .value_kind:     hidden_block_count_z
      - .offset:         36
        .size:           2
        .value_kind:     hidden_group_size_x
      - .offset:         38
        .size:           2
        .value_kind:     hidden_group_size_y
      - .offset:         40
        .size:           2
        .value_kind:     hidden_group_size_z
      - .offset:         42
        .size:           2
        .value_kind:     hidden_remainder_x
      - .offset:         44
        .size:           2
        .value_kind:     hidden_remainder_y
      - .offset:         46
        .size:           2
        .value_kind:     hidden_remainder_z
      - .offset:         64
        .size:           8
        .value_kind:     hidden_global_offset_x
      - .offset:         72
        .size:           8
        .value_kind:     hidden_global_offset_y
      - .offset:         80
        .size:           8
        .value_kind:     hidden_global_offset_z
      - .offset:         88
        .size:           2
        .value_kind:     hidden_grid_dims
    .group_segment_fixed_size: 0
    .kernarg_segment_align: 8
    .kernarg_segment_size: 280
    .language:       OpenCL C
    .language_version:
      - 2
      - 0
    .max_flat_workgroup_size: 1024
    .name:           _ZL21cpy_scalar_contiguousI14__hip_bfloat16fEvPKcPcl
    .private_segment_fixed_size: 0
    .sgpr_count:     10
    .sgpr_spill_count: 0
    .symbol:         _ZL21cpy_scalar_contiguousI14__hip_bfloat16fEvPKcPcl.kd
    .uniform_work_group_size: 1
    .uses_dynamic_stack: false
    .vgpr_count:     4
    .vgpr_spill_count: 0
    .wavefront_size: 32
  - .args:
      - .address_space:  global
        .offset:         0
        .size:           8
        .value_kind:     global_buffer
      - .address_space:  global
        .offset:         8
        .size:           8
        .value_kind:     global_buffer
      - .offset:         16
        .size:           8
        .value_kind:     by_value
      - .offset:         24
        .size:           8
        .value_kind:     by_value
      - .offset:         32
        .size:           8
        .value_kind:     by_value
      - .offset:         40
        .size:           8
        .value_kind:     by_value
      - .offset:         48
        .size:           8
        .value_kind:     by_value
      - .offset:         56
        .size:           8
        .value_kind:     by_value
      - .offset:         64
        .size:           8
        .value_kind:     by_value
      - .offset:         72
        .size:           8
        .value_kind:     by_value
      - .offset:         80
        .size:           8
        .value_kind:     by_value
      - .offset:         88
        .size:           8
        .value_kind:     by_value
      - .offset:         96
        .size:           8
        .value_kind:     by_value
      - .offset:         104
        .size:           8
        .value_kind:     by_value
      - .offset:         112
        .size:           8
        .value_kind:     by_value
      - .offset:         120
        .size:           8
        .value_kind:     by_value
      - .offset:         128
        .size:           8
        .value_kind:     by_value
      - .offset:         136
        .size:           4
        .value_kind:     hidden_block_count_x
      - .offset:         140
        .size:           4
        .value_kind:     hidden_block_count_y
      - .offset:         144
        .size:           4
        .value_kind:     hidden_block_count_z
      - .offset:         148
        .size:           2
        .value_kind:     hidden_group_size_x
      - .offset:         150
        .size:           2
        .value_kind:     hidden_group_size_y
      - .offset:         152
        .size:           2
        .value_kind:     hidden_group_size_z
      - .offset:         154
        .size:           2
        .value_kind:     hidden_remainder_x
      - .offset:         156
        .size:           2
        .value_kind:     hidden_remainder_y
      - .offset:         158
        .size:           2
        .value_kind:     hidden_remainder_z
      - .offset:         176
        .size:           8
        .value_kind:     hidden_global_offset_x
      - .offset:         184
        .size:           8
        .value_kind:     hidden_global_offset_y
      - .offset:         192
        .size:           8
        .value_kind:     hidden_global_offset_z
      - .offset:         200
        .size:           2
        .value_kind:     hidden_grid_dims
    .group_segment_fixed_size: 0
    .kernarg_segment_align: 8
    .kernarg_segment_size: 392
    .language:       OpenCL C
    .language_version:
      - 2
      - 0
    .max_flat_workgroup_size: 1024
    .name:           _ZL10cpy_scalarIXadL_ZL12cpy_1_scalarI14__hip_bfloat16fEvPKcPcEEEvS3_S4_lllllllllllllll
    .private_segment_fixed_size: 0
    .sgpr_count:     54
    .sgpr_spill_count: 0
    .symbol:         _ZL10cpy_scalarIXadL_ZL12cpy_1_scalarI14__hip_bfloat16fEvPKcPcEEEvS3_S4_lllllllllllllll.kd
    .uniform_work_group_size: 1
    .uses_dynamic_stack: false
    .vgpr_count:     30
    .vgpr_spill_count: 0
    .wavefront_size: 32
  - .args:
      - .address_space:  global
        .offset:         0
        .size:           8
        .value_kind:     global_buffer
      - .address_space:  global
        .offset:         8
        .size:           8
        .value_kind:     global_buffer
      - .offset:         16
        .size:           8
        .value_kind:     by_value
      - .offset:         24
        .size:           8
        .value_kind:     by_value
      - .offset:         32
        .size:           8
        .value_kind:     by_value
      - .offset:         40
        .size:           8
        .value_kind:     by_value
      - .offset:         48
        .size:           8
        .value_kind:     by_value
      - .offset:         56
        .size:           8
        .value_kind:     by_value
      - .offset:         64
        .size:           8
        .value_kind:     by_value
      - .offset:         72
        .size:           8
        .value_kind:     by_value
      - .offset:         80
        .size:           8
        .value_kind:     by_value
      - .offset:         88
        .size:           8
        .value_kind:     by_value
      - .offset:         96
        .size:           8
        .value_kind:     by_value
      - .offset:         104
        .size:           8
        .value_kind:     by_value
      - .offset:         112
        .size:           8
        .value_kind:     by_value
      - .offset:         120
        .size:           8
        .value_kind:     by_value
      - .offset:         128
        .size:           8
        .value_kind:     by_value
    .group_segment_fixed_size: 8448
    .kernarg_segment_align: 8
    .kernarg_segment_size: 136
    .language:       OpenCL C
    .language_version:
      - 2
      - 0
    .max_flat_workgroup_size: 1024
    .name:           _ZL20cpy_scalar_transposeIiEvPKcPclllllllllllllll
    .private_segment_fixed_size: 0
    .sgpr_count:     32
    .sgpr_spill_count: 0
    .symbol:         _ZL20cpy_scalar_transposeIiEvPKcPclllllllllllllll.kd
    .uniform_work_group_size: 1
    .uses_dynamic_stack: false
    .vgpr_count:     20
    .vgpr_spill_count: 0
    .wavefront_size: 32
  - .args:
      - .address_space:  global
        .offset:         0
        .size:           8
        .value_kind:     global_buffer
      - .address_space:  global
        .offset:         8
        .size:           8
        .value_kind:     global_buffer
      - .offset:         16
        .size:           8
        .value_kind:     by_value
      - .offset:         24
        .size:           8
        .value_kind:     by_value
      - .offset:         32
        .size:           8
        .value_kind:     by_value
      - .offset:         40
        .size:           8
        .value_kind:     by_value
      - .offset:         48
        .size:           8
        .value_kind:     by_value
      - .offset:         56
        .size:           8
        .value_kind:     by_value
      - .offset:         64
        .size:           8
        .value_kind:     by_value
      - .offset:         72
        .size:           8
        .value_kind:     by_value
      - .offset:         80
        .size:           8
        .value_kind:     by_value
      - .offset:         88
        .size:           8
        .value_kind:     by_value
      - .offset:         96
        .size:           8
        .value_kind:     by_value
      - .offset:         104
        .size:           8
        .value_kind:     by_value
      - .offset:         112
        .size:           8
        .value_kind:     by_value
      - .offset:         120
        .size:           8
        .value_kind:     by_value
      - .offset:         128
        .size:           8
        .value_kind:     by_value
      - .offset:         136
        .size:           4
        .value_kind:     hidden_block_count_x
      - .offset:         140
        .size:           4
        .value_kind:     hidden_block_count_y
      - .offset:         144
        .size:           4
        .value_kind:     hidden_block_count_z
      - .offset:         148
        .size:           2
        .value_kind:     hidden_group_size_x
      - .offset:         150
        .size:           2
        .value_kind:     hidden_group_size_y
      - .offset:         152
        .size:           2
        .value_kind:     hidden_group_size_z
      - .offset:         154
        .size:           2
        .value_kind:     hidden_remainder_x
      - .offset:         156
        .size:           2
        .value_kind:     hidden_remainder_y
      - .offset:         158
        .size:           2
        .value_kind:     hidden_remainder_z
      - .offset:         176
        .size:           8
        .value_kind:     hidden_global_offset_x
      - .offset:         184
        .size:           8
        .value_kind:     hidden_global_offset_y
      - .offset:         192
        .size:           8
        .value_kind:     hidden_global_offset_z
      - .offset:         200
        .size:           2
        .value_kind:     hidden_grid_dims
    .group_segment_fixed_size: 0
    .kernarg_segment_align: 8
    .kernarg_segment_size: 392
    .language:       OpenCL C
    .language_version:
      - 2
      - 0
    .max_flat_workgroup_size: 1024
    .name:           _ZL10cpy_scalarIXadL_ZL12cpy_1_scalarIiiEvPKcPcEEEvS2_S3_lllllllllllllll
    .private_segment_fixed_size: 0
    .sgpr_count:     54
    .sgpr_spill_count: 0
    .symbol:         _ZL10cpy_scalarIXadL_ZL12cpy_1_scalarIiiEvPKcPcEEEvS2_S3_lllllllllllllll.kd
    .uniform_work_group_size: 1
    .uses_dynamic_stack: false
    .vgpr_count:     30
    .vgpr_spill_count: 0
    .wavefront_size: 32
  - .args:
      - .address_space:  global
        .offset:         0
        .size:           8
        .value_kind:     global_buffer
      - .address_space:  global
        .offset:         8
        .size:           8
        .value_kind:     global_buffer
      - .offset:         16
        .size:           8
        .value_kind:     by_value
      - .offset:         24
        .size:           4
        .value_kind:     hidden_block_count_x
      - .offset:         28
        .size:           4
        .value_kind:     hidden_block_count_y
      - .offset:         32
        .size:           4
        .value_kind:     hidden_block_count_z
      - .offset:         36
        .size:           2
        .value_kind:     hidden_group_size_x
      - .offset:         38
        .size:           2
        .value_kind:     hidden_group_size_y
      - .offset:         40
        .size:           2
        .value_kind:     hidden_group_size_z
      - .offset:         42
        .size:           2
        .value_kind:     hidden_remainder_x
      - .offset:         44
        .size:           2
        .value_kind:     hidden_remainder_y
      - .offset:         46
        .size:           2
        .value_kind:     hidden_remainder_z
      - .offset:         64
        .size:           8
        .value_kind:     hidden_global_offset_x
      - .offset:         72
        .size:           8
        .value_kind:     hidden_global_offset_y
      - .offset:         80
        .size:           8
        .value_kind:     hidden_global_offset_z
      - .offset:         88
        .size:           2
        .value_kind:     hidden_grid_dims
    .group_segment_fixed_size: 0
    .kernarg_segment_align: 8
    .kernarg_segment_size: 280
    .language:       OpenCL C
    .language_version:
      - 2
      - 0
    .max_flat_workgroup_size: 1024
    .name:           _ZL21cpy_scalar_contiguousIfiEvPKcPcl
    .private_segment_fixed_size: 0
    .sgpr_count:     10
    .sgpr_spill_count: 0
    .symbol:         _ZL21cpy_scalar_contiguousIfiEvPKcPcl.kd
    .uniform_work_group_size: 1
    .uses_dynamic_stack: false
    .vgpr_count:     4
    .vgpr_spill_count: 0
    .wavefront_size: 32
  - .args:
      - .address_space:  global
        .offset:         0
        .size:           8
        .value_kind:     global_buffer
      - .address_space:  global
        .offset:         8
        .size:           8
        .value_kind:     global_buffer
      - .offset:         16
        .size:           8
        .value_kind:     by_value
      - .offset:         24
        .size:           8
        .value_kind:     by_value
      - .offset:         32
        .size:           8
        .value_kind:     by_value
      - .offset:         40
        .size:           8
        .value_kind:     by_value
      - .offset:         48
        .size:           8
        .value_kind:     by_value
      - .offset:         56
        .size:           8
        .value_kind:     by_value
      - .offset:         64
        .size:           8
        .value_kind:     by_value
      - .offset:         72
        .size:           8
        .value_kind:     by_value
      - .offset:         80
        .size:           8
        .value_kind:     by_value
      - .offset:         88
        .size:           8
        .value_kind:     by_value
      - .offset:         96
        .size:           8
        .value_kind:     by_value
      - .offset:         104
        .size:           8
        .value_kind:     by_value
      - .offset:         112
        .size:           8
        .value_kind:     by_value
      - .offset:         120
        .size:           8
        .value_kind:     by_value
      - .offset:         128
        .size:           8
        .value_kind:     by_value
      - .offset:         136
        .size:           4
        .value_kind:     hidden_block_count_x
      - .offset:         140
        .size:           4
        .value_kind:     hidden_block_count_y
      - .offset:         144
        .size:           4
        .value_kind:     hidden_block_count_z
      - .offset:         148
        .size:           2
        .value_kind:     hidden_group_size_x
      - .offset:         150
        .size:           2
        .value_kind:     hidden_group_size_y
      - .offset:         152
        .size:           2
        .value_kind:     hidden_group_size_z
      - .offset:         154
        .size:           2
        .value_kind:     hidden_remainder_x
      - .offset:         156
        .size:           2
        .value_kind:     hidden_remainder_y
      - .offset:         158
        .size:           2
        .value_kind:     hidden_remainder_z
      - .offset:         176
        .size:           8
        .value_kind:     hidden_global_offset_x
      - .offset:         184
        .size:           8
        .value_kind:     hidden_global_offset_y
      - .offset:         192
        .size:           8
        .value_kind:     hidden_global_offset_z
      - .offset:         200
        .size:           2
        .value_kind:     hidden_grid_dims
    .group_segment_fixed_size: 0
    .kernarg_segment_align: 8
    .kernarg_segment_size: 392
    .language:       OpenCL C
    .language_version:
      - 2
      - 0
    .max_flat_workgroup_size: 1024
    .name:           _ZL10cpy_scalarIXadL_ZL12cpy_1_scalarIfiEvPKcPcEEEvS2_S3_lllllllllllllll
    .private_segment_fixed_size: 0
    .sgpr_count:     54
    .sgpr_spill_count: 0
    .symbol:         _ZL10cpy_scalarIXadL_ZL12cpy_1_scalarIfiEvPKcPcEEEvS2_S3_lllllllllllllll.kd
    .uniform_work_group_size: 1
    .uses_dynamic_stack: false
    .vgpr_count:     30
    .vgpr_spill_count: 0
    .wavefront_size: 32
  - .args:
      - .address_space:  global
        .offset:         0
        .size:           8
        .value_kind:     global_buffer
      - .address_space:  global
        .offset:         8
        .size:           8
        .value_kind:     global_buffer
      - .offset:         16
        .size:           8
        .value_kind:     by_value
      - .offset:         24
        .size:           4
        .value_kind:     hidden_block_count_x
      - .offset:         28
        .size:           4
        .value_kind:     hidden_block_count_y
      - .offset:         32
        .size:           4
        .value_kind:     hidden_block_count_z
      - .offset:         36
        .size:           2
        .value_kind:     hidden_group_size_x
      - .offset:         38
        .size:           2
        .value_kind:     hidden_group_size_y
      - .offset:         40
        .size:           2
        .value_kind:     hidden_group_size_z
      - .offset:         42
        .size:           2
        .value_kind:     hidden_remainder_x
      - .offset:         44
        .size:           2
        .value_kind:     hidden_remainder_y
      - .offset:         46
        .size:           2
        .value_kind:     hidden_remainder_z
      - .offset:         64
        .size:           8
        .value_kind:     hidden_global_offset_x
      - .offset:         72
        .size:           8
        .value_kind:     hidden_global_offset_y
      - .offset:         80
        .size:           8
        .value_kind:     hidden_global_offset_z
      - .offset:         88
        .size:           2
        .value_kind:     hidden_grid_dims
    .group_segment_fixed_size: 0
    .kernarg_segment_align: 8
    .kernarg_segment_size: 280
    .language:       OpenCL C
    .language_version:
      - 2
      - 0
    .max_flat_workgroup_size: 1024
    .name:           _ZL21cpy_scalar_contiguousIifEvPKcPcl
    .private_segment_fixed_size: 0
    .sgpr_count:     10
    .sgpr_spill_count: 0
    .symbol:         _ZL21cpy_scalar_contiguousIifEvPKcPcl.kd
    .uniform_work_group_size: 1
    .uses_dynamic_stack: false
    .vgpr_count:     4
    .vgpr_spill_count: 0
    .wavefront_size: 32
  - .args:
      - .address_space:  global
        .offset:         0
        .size:           8
        .value_kind:     global_buffer
      - .address_space:  global
        .offset:         8
        .size:           8
        .value_kind:     global_buffer
      - .offset:         16
        .size:           8
        .value_kind:     by_value
      - .offset:         24
        .size:           8
        .value_kind:     by_value
      - .offset:         32
        .size:           8
        .value_kind:     by_value
      - .offset:         40
        .size:           8
        .value_kind:     by_value
      - .offset:         48
        .size:           8
        .value_kind:     by_value
      - .offset:         56
        .size:           8
        .value_kind:     by_value
      - .offset:         64
        .size:           8
        .value_kind:     by_value
      - .offset:         72
        .size:           8
        .value_kind:     by_value
      - .offset:         80
        .size:           8
        .value_kind:     by_value
      - .offset:         88
        .size:           8
        .value_kind:     by_value
      - .offset:         96
        .size:           8
        .value_kind:     by_value
      - .offset:         104
        .size:           8
        .value_kind:     by_value
      - .offset:         112
        .size:           8
        .value_kind:     by_value
      - .offset:         120
        .size:           8
        .value_kind:     by_value
      - .offset:         128
        .size:           8
        .value_kind:     by_value
      - .offset:         136
        .size:           4
        .value_kind:     hidden_block_count_x
      - .offset:         140
        .size:           4
        .value_kind:     hidden_block_count_y
      - .offset:         144
        .size:           4
        .value_kind:     hidden_block_count_z
      - .offset:         148
        .size:           2
        .value_kind:     hidden_group_size_x
      - .offset:         150
        .size:           2
        .value_kind:     hidden_group_size_y
      - .offset:         152
        .size:           2
        .value_kind:     hidden_group_size_z
      - .offset:         154
        .size:           2
        .value_kind:     hidden_remainder_x
      - .offset:         156
        .size:           2
        .value_kind:     hidden_remainder_y
      - .offset:         158
        .size:           2
        .value_kind:     hidden_remainder_z
      - .offset:         176
        .size:           8
        .value_kind:     hidden_global_offset_x
      - .offset:         184
        .size:           8
        .value_kind:     hidden_global_offset_y
      - .offset:         192
        .size:           8
        .value_kind:     hidden_global_offset_z
      - .offset:         200
        .size:           2
        .value_kind:     hidden_grid_dims
    .group_segment_fixed_size: 0
    .kernarg_segment_align: 8
    .kernarg_segment_size: 392
    .language:       OpenCL C
    .language_version:
      - 2
      - 0
    .max_flat_workgroup_size: 1024
    .name:           _ZL10cpy_scalarIXadL_ZL12cpy_1_scalarIifEvPKcPcEEEvS2_S3_lllllllllllllll
    .private_segment_fixed_size: 0
    .sgpr_count:     54
    .sgpr_spill_count: 0
    .symbol:         _ZL10cpy_scalarIXadL_ZL12cpy_1_scalarIifEvPKcPcEEEvS2_S3_lllllllllllllll.kd
    .uniform_work_group_size: 1
    .uses_dynamic_stack: false
    .vgpr_count:     30
    .vgpr_spill_count: 0
    .wavefront_size: 32
amdhsa.target:   amdgcn-amd-amdhsa--gfx1250
amdhsa.version:
  - 1
  - 2
...

	.end_amdgpu_metadata
